;; amdgpu-corpus repo=ROCm/rocFFT kind=compiled arch=gfx1030 opt=O3
	.text
	.amdgcn_target "amdgcn-amd-amdhsa--gfx1030"
	.amdhsa_code_object_version 6
	.protected	fft_rtc_back_len975_factors_13_5_3_5_wgs_117_tpt_39_halfLds_half_ip_CI_sbrr_dirReg ; -- Begin function fft_rtc_back_len975_factors_13_5_3_5_wgs_117_tpt_39_halfLds_half_ip_CI_sbrr_dirReg
	.globl	fft_rtc_back_len975_factors_13_5_3_5_wgs_117_tpt_39_halfLds_half_ip_CI_sbrr_dirReg
	.p2align	8
	.type	fft_rtc_back_len975_factors_13_5_3_5_wgs_117_tpt_39_halfLds_half_ip_CI_sbrr_dirReg,@function
fft_rtc_back_len975_factors_13_5_3_5_wgs_117_tpt_39_halfLds_half_ip_CI_sbrr_dirReg: ; @fft_rtc_back_len975_factors_13_5_3_5_wgs_117_tpt_39_halfLds_half_ip_CI_sbrr_dirReg
; %bb.0:
	s_clause 0x1
	s_load_dwordx2 s[14:15], s[4:5], 0x18
	s_load_dwordx4 s[8:11], s[4:5], 0x0
	v_mul_u32_u24_e32 v1, 0x691, v0
	v_mov_b32_e32 v6, 0
	v_mov_b32_e32 v4, 0
	v_mov_b32_e32 v5, 0
	s_load_dwordx2 s[12:13], s[4:5], 0x50
	s_waitcnt lgkmcnt(0)
	s_load_dwordx2 s[2:3], s[14:15], 0x0
	v_lshrrev_b32_e32 v1, 16, v1
	v_cmp_lt_u64_e64 s0, s[10:11], 2
	v_mad_u64_u32 v[2:3], null, s6, 3, v[1:2]
	v_mov_b32_e32 v3, v6
	s_and_b32 vcc_lo, exec_lo, s0
	v_mov_b32_e32 v11, v3
	v_mov_b32_e32 v10, v2
	s_cbranch_vccnz .LBB0_8
; %bb.1:
	s_load_dwordx2 s[0:1], s[4:5], 0x10
	v_mov_b32_e32 v4, 0
	v_mov_b32_e32 v9, v3
	s_add_u32 s6, s14, 8
	v_mov_b32_e32 v5, 0
	v_mov_b32_e32 v8, v2
	s_addc_u32 s7, s15, 0
	s_mov_b64 s[18:19], 1
	s_waitcnt lgkmcnt(0)
	s_add_u32 s16, s0, 8
	s_addc_u32 s17, s1, 0
.LBB0_2:                                ; =>This Inner Loop Header: Depth=1
	s_load_dwordx2 s[20:21], s[16:17], 0x0
                                        ; implicit-def: $vgpr10_vgpr11
	s_mov_b32 s0, exec_lo
	s_waitcnt lgkmcnt(0)
	v_or_b32_e32 v7, s21, v9
	v_cmpx_ne_u64_e32 0, v[6:7]
	s_xor_b32 s1, exec_lo, s0
	s_cbranch_execz .LBB0_4
; %bb.3:                                ;   in Loop: Header=BB0_2 Depth=1
	v_cvt_f32_u32_e32 v1, s20
	v_cvt_f32_u32_e32 v3, s21
	s_sub_u32 s0, 0, s20
	s_subb_u32 s22, 0, s21
	v_fmac_f32_e32 v1, 0x4f800000, v3
	v_rcp_f32_e32 v1, v1
	v_mul_f32_e32 v1, 0x5f7ffffc, v1
	v_mul_f32_e32 v3, 0x2f800000, v1
	v_trunc_f32_e32 v3, v3
	v_fmac_f32_e32 v1, 0xcf800000, v3
	v_cvt_u32_f32_e32 v3, v3
	v_cvt_u32_f32_e32 v1, v1
	v_mul_lo_u32 v7, s0, v3
	v_mul_hi_u32 v10, s0, v1
	v_mul_lo_u32 v11, s22, v1
	v_add_nc_u32_e32 v7, v10, v7
	v_mul_lo_u32 v10, s0, v1
	v_add_nc_u32_e32 v7, v7, v11
	v_mul_hi_u32 v11, v1, v10
	v_mul_lo_u32 v12, v1, v7
	v_mul_hi_u32 v13, v1, v7
	v_mul_hi_u32 v14, v3, v10
	v_mul_lo_u32 v10, v3, v10
	v_mul_hi_u32 v15, v3, v7
	v_mul_lo_u32 v7, v3, v7
	v_add_co_u32 v11, vcc_lo, v11, v12
	v_add_co_ci_u32_e32 v12, vcc_lo, 0, v13, vcc_lo
	v_add_co_u32 v10, vcc_lo, v11, v10
	v_add_co_ci_u32_e32 v10, vcc_lo, v12, v14, vcc_lo
	v_add_co_ci_u32_e32 v11, vcc_lo, 0, v15, vcc_lo
	v_add_co_u32 v7, vcc_lo, v10, v7
	v_add_co_ci_u32_e32 v10, vcc_lo, 0, v11, vcc_lo
	v_add_co_u32 v1, vcc_lo, v1, v7
	v_add_co_ci_u32_e32 v3, vcc_lo, v3, v10, vcc_lo
	v_mul_hi_u32 v7, s0, v1
	v_mul_lo_u32 v11, s22, v1
	v_mul_lo_u32 v10, s0, v3
	v_add_nc_u32_e32 v7, v7, v10
	v_mul_lo_u32 v10, s0, v1
	v_add_nc_u32_e32 v7, v7, v11
	v_mul_hi_u32 v11, v1, v10
	v_mul_lo_u32 v12, v1, v7
	v_mul_hi_u32 v13, v1, v7
	v_mul_hi_u32 v14, v3, v10
	v_mul_lo_u32 v10, v3, v10
	v_mul_hi_u32 v15, v3, v7
	v_mul_lo_u32 v7, v3, v7
	v_add_co_u32 v11, vcc_lo, v11, v12
	v_add_co_ci_u32_e32 v12, vcc_lo, 0, v13, vcc_lo
	v_add_co_u32 v10, vcc_lo, v11, v10
	v_add_co_ci_u32_e32 v10, vcc_lo, v12, v14, vcc_lo
	v_add_co_ci_u32_e32 v11, vcc_lo, 0, v15, vcc_lo
	v_add_co_u32 v7, vcc_lo, v10, v7
	v_add_co_ci_u32_e32 v10, vcc_lo, 0, v11, vcc_lo
	v_add_co_u32 v1, vcc_lo, v1, v7
	v_add_co_ci_u32_e32 v3, vcc_lo, v3, v10, vcc_lo
	v_mul_hi_u32 v7, v8, v1
	v_mad_u64_u32 v[12:13], null, v9, v1, 0
	v_mad_u64_u32 v[10:11], null, v8, v3, 0
	v_mad_u64_u32 v[14:15], null, v9, v3, 0
	v_add_co_u32 v1, vcc_lo, v7, v10
	v_add_co_ci_u32_e32 v3, vcc_lo, 0, v11, vcc_lo
	v_add_co_u32 v1, vcc_lo, v1, v12
	v_add_co_ci_u32_e32 v1, vcc_lo, v3, v13, vcc_lo
	v_add_co_ci_u32_e32 v3, vcc_lo, 0, v15, vcc_lo
	v_add_co_u32 v1, vcc_lo, v1, v14
	v_add_co_ci_u32_e32 v3, vcc_lo, 0, v3, vcc_lo
	v_mul_lo_u32 v7, s21, v1
	v_mad_u64_u32 v[10:11], null, s20, v1, 0
	v_mul_lo_u32 v12, s20, v3
	v_sub_co_u32 v10, vcc_lo, v8, v10
	v_add3_u32 v7, v11, v12, v7
	v_sub_nc_u32_e32 v11, v9, v7
	v_subrev_co_ci_u32_e64 v11, s0, s21, v11, vcc_lo
	v_add_co_u32 v12, s0, v1, 2
	v_add_co_ci_u32_e64 v13, s0, 0, v3, s0
	v_sub_co_u32 v14, s0, v10, s20
	v_sub_co_ci_u32_e32 v7, vcc_lo, v9, v7, vcc_lo
	v_subrev_co_ci_u32_e64 v11, s0, 0, v11, s0
	v_cmp_le_u32_e32 vcc_lo, s20, v14
	v_cmp_eq_u32_e64 s0, s21, v7
	v_cndmask_b32_e64 v14, 0, -1, vcc_lo
	v_cmp_le_u32_e32 vcc_lo, s21, v11
	v_cndmask_b32_e64 v15, 0, -1, vcc_lo
	v_cmp_le_u32_e32 vcc_lo, s20, v10
	;; [unrolled: 2-line block ×3, first 2 shown]
	v_cndmask_b32_e64 v16, 0, -1, vcc_lo
	v_cmp_eq_u32_e32 vcc_lo, s21, v11
	v_cndmask_b32_e64 v7, v16, v10, s0
	v_cndmask_b32_e32 v11, v15, v14, vcc_lo
	v_add_co_u32 v14, vcc_lo, v1, 1
	v_add_co_ci_u32_e32 v15, vcc_lo, 0, v3, vcc_lo
	v_cmp_ne_u32_e32 vcc_lo, 0, v11
	v_cndmask_b32_e32 v10, v15, v13, vcc_lo
	v_cndmask_b32_e32 v12, v14, v12, vcc_lo
	v_cmp_ne_u32_e32 vcc_lo, 0, v7
	v_cndmask_b32_e32 v11, v3, v10, vcc_lo
	v_cndmask_b32_e32 v10, v1, v12, vcc_lo
.LBB0_4:                                ;   in Loop: Header=BB0_2 Depth=1
	s_andn2_saveexec_b32 s0, s1
	s_cbranch_execz .LBB0_6
; %bb.5:                                ;   in Loop: Header=BB0_2 Depth=1
	v_cvt_f32_u32_e32 v1, s20
	s_sub_i32 s1, 0, s20
	v_mov_b32_e32 v11, v6
	v_rcp_iflag_f32_e32 v1, v1
	v_mul_f32_e32 v1, 0x4f7ffffe, v1
	v_cvt_u32_f32_e32 v1, v1
	v_mul_lo_u32 v3, s1, v1
	v_mul_hi_u32 v3, v1, v3
	v_add_nc_u32_e32 v1, v1, v3
	v_mul_hi_u32 v1, v8, v1
	v_mul_lo_u32 v3, v1, s20
	v_add_nc_u32_e32 v7, 1, v1
	v_sub_nc_u32_e32 v3, v8, v3
	v_subrev_nc_u32_e32 v10, s20, v3
	v_cmp_le_u32_e32 vcc_lo, s20, v3
	v_cndmask_b32_e32 v3, v3, v10, vcc_lo
	v_cndmask_b32_e32 v1, v1, v7, vcc_lo
	v_cmp_le_u32_e32 vcc_lo, s20, v3
	v_add_nc_u32_e32 v7, 1, v1
	v_cndmask_b32_e32 v10, v1, v7, vcc_lo
.LBB0_6:                                ;   in Loop: Header=BB0_2 Depth=1
	s_or_b32 exec_lo, exec_lo, s0
	s_load_dwordx2 s[0:1], s[6:7], 0x0
	v_mul_lo_u32 v1, v11, s20
	v_mul_lo_u32 v3, v10, s21
	v_mad_u64_u32 v[12:13], null, v10, s20, 0
	s_add_u32 s18, s18, 1
	s_addc_u32 s19, s19, 0
	s_add_u32 s6, s6, 8
	s_addc_u32 s7, s7, 0
	s_add_u32 s16, s16, 8
	s_addc_u32 s17, s17, 0
	v_add3_u32 v1, v13, v3, v1
	v_sub_co_u32 v3, vcc_lo, v8, v12
	v_sub_co_ci_u32_e32 v1, vcc_lo, v9, v1, vcc_lo
	s_waitcnt lgkmcnt(0)
	v_mul_lo_u32 v7, s1, v3
	v_mul_lo_u32 v1, s0, v1
	v_mad_u64_u32 v[4:5], null, s0, v3, v[4:5]
	v_cmp_ge_u64_e64 s0, s[18:19], s[10:11]
	s_and_b32 vcc_lo, exec_lo, s0
	v_add3_u32 v5, v7, v5, v1
	s_cbranch_vccnz .LBB0_8
; %bb.7:                                ;   in Loop: Header=BB0_2 Depth=1
	v_mov_b32_e32 v8, v10
	v_mov_b32_e32 v9, v11
	s_branch .LBB0_2
.LBB0_8:
	s_lshl_b64 s[0:1], s[10:11], 3
	v_mul_hi_u32 v1, 0x6906907, v0
	s_add_u32 s0, s14, s0
	s_addc_u32 s1, s15, s1
	v_mov_b32_e32 v43, 0
	s_load_dwordx2 s[0:1], s[0:1], 0x0
	s_load_dwordx2 s[4:5], s[4:5], 0x20
                                        ; implicit-def: $vgpr42
                                        ; implicit-def: $vgpr53
                                        ; implicit-def: $vgpr54
                                        ; implicit-def: $vgpr9
                                        ; implicit-def: $vgpr52
                                        ; implicit-def: $vgpr51
                                        ; implicit-def: $vgpr12
                                        ; implicit-def: $vgpr48
                                        ; implicit-def: $vgpr13
                                        ; implicit-def: $vgpr44
                                        ; implicit-def: $vgpr15
                                        ; implicit-def: $vgpr24
                                        ; implicit-def: $vgpr38
                                        ; implicit-def: $vgpr23
                                        ; implicit-def: $vgpr35
                                        ; implicit-def: $vgpr22
                                        ; implicit-def: $vgpr34
                                        ; implicit-def: $vgpr20
                                        ; implicit-def: $vgpr33
                                        ; implicit-def: $vgpr19
                                        ; implicit-def: $vgpr32
                                        ; implicit-def: $vgpr18
                                        ; implicit-def: $vgpr30
                                        ; implicit-def: $vgpr41
                                        ; implicit-def: $vgpr40
                                        ; implicit-def: $vgpr39
                                        ; implicit-def: $vgpr14
                                        ; implicit-def: $vgpr37
                                        ; implicit-def: $vgpr16
                                        ; implicit-def: $vgpr36
                                        ; implicit-def: $vgpr17
                                        ; implicit-def: $vgpr31
                                        ; implicit-def: $vgpr45
                                        ; implicit-def: $vgpr29
                                        ; implicit-def: $vgpr46
                                        ; implicit-def: $vgpr28
                                        ; implicit-def: $vgpr47
                                        ; implicit-def: $vgpr27
                                        ; implicit-def: $vgpr49
                                        ; implicit-def: $vgpr26
                                        ; implicit-def: $vgpr50
                                        ; implicit-def: $vgpr25
                                        ; implicit-def: $vgpr55
                                        ; implicit-def: $vgpr21
	v_mul_u32_u24_e32 v1, 39, v1
	s_waitcnt lgkmcnt(0)
	v_mul_lo_u32 v3, s0, v11
	v_mul_lo_u32 v6, s1, v10
	v_mad_u64_u32 v[7:8], null, s0, v10, v[4:5]
	v_cmp_gt_u64_e32 vcc_lo, s[4:5], v[10:11]
	v_sub_nc_u32_e32 v4, v0, v1
                                        ; implicit-def: $vgpr11
                                        ; implicit-def: $vgpr5
                                        ; implicit-def: $vgpr10
	v_add3_u32 v8, v6, v8, v3
	v_mov_b32_e32 v6, 0
                                        ; implicit-def: $vgpr3
	v_lshlrev_b64 v[0:1], 2, v[7:8]
                                        ; implicit-def: $vgpr7
                                        ; implicit-def: $vgpr8
	s_and_saveexec_b32 s1, vcc_lo
	s_cbranch_execz .LBB0_12
; %bb.9:
	v_mad_u64_u32 v[5:6], null, s2, v4, 0
	v_add_nc_u32_e32 v12, 0x4b, v4
	v_add_nc_u32_e32 v14, 0x96, v4
	;; [unrolled: 1-line block ×5, first 2 shown]
	v_mad_u64_u32 v[7:8], null, s2, v12, 0
	v_mov_b32_e32 v3, v6
	v_add_co_u32 v42, s0, s12, v0
	v_add_co_ci_u32_e64 v44, s0, s13, v1, s0
	v_mad_u64_u32 v[9:10], null, s3, v4, v[3:4]
	v_mov_b32_e32 v3, v8
	v_mad_u64_u32 v[10:11], null, s2, v14, 0
	v_add_nc_u32_e32 v25, 0x20d, v4
	v_add_nc_u32_e32 v34, 0x2ee, v4
	v_mad_u64_u32 v[12:13], null, s3, v12, v[3:4]
	v_mov_b32_e32 v6, v9
	v_add_nc_u32_e32 v9, 0xe1, v4
	v_mov_b32_e32 v3, v11
	v_mad_u64_u32 v[19:20], null, s2, v25, 0
	v_lshlrev_b64 v[5:6], 2, v[5:6]
	v_mov_b32_e32 v8, v12
	v_mad_u64_u32 v[12:13], null, s2, v9, 0
	v_mad_u64_u32 v[14:15], null, s3, v14, v[3:4]
	;; [unrolled: 1-line block ×3, first 2 shown]
	v_lshlrev_b64 v[7:8], 2, v[7:8]
	v_add_co_u32 v5, s0, v42, v5
	v_mov_b32_e32 v3, v13
	v_mov_b32_e32 v11, v14
	v_add_co_ci_u32_e64 v6, s0, v44, v6, s0
	v_add_co_u32 v7, s0, v42, v7
	v_mad_u64_u32 v[13:14], null, s3, v9, v[3:4]
	v_mov_b32_e32 v3, v16
	v_lshlrev_b64 v[9:10], 2, v[10:11]
	v_add_co_ci_u32_e64 v8, s0, v44, v8, s0
	v_mad_u64_u32 v[28:29], null, s2, v34, 0
	v_mad_u64_u32 v[16:17], null, s3, v17, v[3:4]
	;; [unrolled: 1-line block ×3, first 2 shown]
	v_lshlrev_b64 v[11:12], 2, v[12:13]
	v_mad_u64_u32 v[13:14], null, s2, v24, 0
	v_add_co_u32 v9, s0, v42, v9
	v_add_co_ci_u32_e64 v10, s0, v44, v10, s0
	v_mov_b32_e32 v3, v18
	v_add_nc_u32_e32 v38, 0x339, v4
	v_add_nc_u32_e32 v39, 0x384, v4
	v_mov_b32_e32 v43, 0
                                        ; implicit-def: $vgpr40
                                        ; implicit-def: $vgpr41
	v_mad_u64_u32 v[21:22], null, s3, v21, v[3:4]
	v_mov_b32_e32 v3, v14
	v_add_co_u32 v22, s0, v42, v11
	v_add_co_ci_u32_e64 v23, s0, v44, v12, s0
	v_lshlrev_b64 v[11:12], 2, v[15:16]
	v_mad_u64_u32 v[15:16], null, s3, v24, v[3:4]
	v_mov_b32_e32 v14, v20
	v_mov_b32_e32 v18, v21
	v_mad_u64_u32 v[36:37], null, s2, v39, 0
	v_add_co_u32 v24, s0, v42, v11
	v_mad_u64_u32 v[20:21], null, s3, v25, v[14:15]
	v_add_nc_u32_e32 v21, 0x258, v4
	v_add_co_ci_u32_e64 v25, s0, v44, v12, s0
	v_lshlrev_b64 v[11:12], 2, v[17:18]
	v_mov_b32_e32 v14, v15
	v_mad_u64_u32 v[16:17], null, s2, v21, 0
	v_add_nc_u32_e32 v15, 0x2a3, v4
	v_add_co_u32 v26, s0, v42, v11
	v_add_co_ci_u32_e64 v27, s0, v44, v12, s0
	v_mov_b32_e32 v3, v17
	v_lshlrev_b64 v[11:12], 2, v[13:14]
	v_lshlrev_b64 v[13:14], 2, v[19:20]
	v_mad_u64_u32 v[18:19], null, s2, v15, 0
	v_mad_u64_u32 v[20:21], null, s3, v21, v[3:4]
	v_add_co_u32 v30, s0, v42, v11
	v_mov_b32_e32 v11, v29
	v_add_co_ci_u32_e64 v31, s0, v44, v12, s0
	v_mov_b32_e32 v3, v19
	v_mov_b32_e32 v17, v20
	v_mad_u64_u32 v[20:21], null, s3, v34, v[11:12]
	v_mad_u64_u32 v[34:35], null, s2, v38, 0
	v_add_co_u32 v32, s0, v42, v13
	v_add_co_ci_u32_e64 v33, s0, v44, v14, s0
	v_mad_u64_u32 v[14:15], null, s3, v15, v[3:4]
	v_mov_b32_e32 v3, v35
	s_clause 0x7
	global_load_dword v11, v[5:6], off
	global_load_dword v5, v[7:8], off
	;; [unrolled: 1-line block ×8, first 2 shown]
	v_lshlrev_b64 v[6:7], 2, v[16:17]
	v_mov_b32_e32 v29, v20
                                        ; implicit-def: $vgpr31
                                        ; implicit-def: $vgpr8
                                        ; implicit-def: $vgpr30
                                        ; implicit-def: $vgpr32
                                        ; implicit-def: $vgpr33
	v_mad_u64_u32 v[16:17], null, s3, v38, v[3:4]
	v_mov_b32_e32 v19, v14
	v_mov_b32_e32 v3, v37
	v_add_co_u32 v6, s0, v42, v6
	v_lshlrev_b64 v[22:23], 2, v[28:29]
	v_lshlrev_b64 v[17:18], 2, v[18:19]
	v_mad_u64_u32 v[19:20], null, s3, v39, v[3:4]
	v_mov_b32_e32 v35, v16
	v_add_co_ci_u32_e64 v7, s0, v44, v7, s0
	v_add_co_u32 v16, s0, v42, v17
	v_add_co_ci_u32_e64 v17, s0, v44, v18, s0
	v_mov_b32_e32 v37, v19
	v_lshlrev_b64 v[24:25], 2, v[34:35]
	v_add_co_u32 v18, s0, v42, v22
	v_add_co_ci_u32_e64 v19, s0, v44, v23, s0
	v_lshlrev_b64 v[22:23], 2, v[36:37]
	v_add_co_u32 v28, s0, v42, v24
	v_add_co_ci_u32_e64 v29, s0, v44, v25, s0
                                        ; implicit-def: $vgpr36
                                        ; implicit-def: $vgpr37
                                        ; implicit-def: $vgpr14
                                        ; implicit-def: $vgpr39
                                        ; implicit-def: $vgpr3
                                        ; implicit-def: $vgpr20
                                        ; implicit-def: $vgpr34
                                        ; implicit-def: $vgpr35
                                        ; implicit-def: $vgpr38
                                        ; implicit-def: $vgpr24
	v_add_co_u32 v22, s0, v42, v22
	v_add_co_ci_u32_e64 v23, s0, v44, v23, s0
	s_clause 0x4
	global_load_dword v25, v[6:7], off
	global_load_dword v26, v[16:17], off
	;; [unrolled: 1-line block ×5, first 2 shown]
	v_cmp_gt_u32_e64 s0, 36, v4
	v_mov_b32_e32 v6, 0
                                        ; implicit-def: $vgpr17
                                        ; implicit-def: $vgpr16
                                        ; implicit-def: $vgpr7
                                        ; implicit-def: $vgpr18
                                        ; implicit-def: $vgpr19
                                        ; implicit-def: $vgpr22
                                        ; implicit-def: $vgpr23
	s_and_saveexec_b32 s4, s0
	s_cbranch_execz .LBB0_11
; %bb.10:
	v_add_nc_u32_e32 v8, 39, v4
	v_add_nc_u32_e32 v14, 0x72, v4
	v_add_nc_u32_e32 v30, 0xbd, v4
	v_add_nc_u32_e32 v33, 0x108, v4
	v_mad_u64_u32 v[6:7], null, s2, v8, 0
	v_mad_u64_u32 v[16:17], null, s2, v14, 0
	;; [unrolled: 1-line block ×3, first 2 shown]
	v_mov_b32_e32 v3, v7
	v_mov_b32_e32 v7, v17
	v_mad_u64_u32 v[22:23], null, s3, v8, v[3:4]
	v_mad_u64_u32 v[23:24], null, s2, v33, 0
	v_mov_b32_e32 v3, v19
	v_mad_u64_u32 v[19:20], null, s3, v14, v[7:8]
	v_add_nc_u32_e32 v8, 0x153, v4
	v_add_nc_u32_e32 v14, 0x19e, v4
	v_mad_u64_u32 v[30:31], null, s3, v30, v[3:4]
	v_mov_b32_e32 v3, v24
	v_mad_u64_u32 v[31:32], null, s2, v8, 0
	v_add_nc_u32_e32 v20, 0x1e9, v4
	v_mov_b32_e32 v7, v22
	v_mad_u64_u32 v[33:34], null, s3, v33, v[3:4]
	v_mov_b32_e32 v17, v19
	v_mad_u64_u32 v[35:36], null, s2, v20, 0
	v_mov_b32_e32 v3, v32
	v_lshlrev_b64 v[6:7], 2, v[6:7]
	v_mov_b32_e32 v19, v30
	v_mov_b32_e32 v24, v33
	v_lshlrev_b64 v[16:17], 2, v[16:17]
	v_mad_u64_u32 v[32:33], null, s3, v8, v[3:4]
	v_mad_u64_u32 v[33:34], null, s2, v14, 0
	v_lshlrev_b64 v[22:23], 2, v[23:24]
	v_add_nc_u32_e32 v24, 0x234, v4
	v_add_co_u32 v6, s0, v42, v6
	v_lshlrev_b64 v[18:19], 2, v[18:19]
	v_add_co_ci_u32_e64 v7, s0, v44, v7, s0
	v_mov_b32_e32 v3, v34
	v_mad_u64_u32 v[37:38], null, s2, v24, 0
	v_add_co_u32 v16, s0, v42, v16
	v_mad_u64_u32 v[39:40], null, s3, v14, v[3:4]
	v_mov_b32_e32 v3, v36
	v_add_co_ci_u32_e64 v17, s0, v44, v17, s0
	v_mov_b32_e32 v8, v38
	v_add_co_u32 v18, s0, v42, v18
	v_mov_b32_e32 v34, v39
	v_mad_u64_u32 v[38:39], null, s3, v20, v[3:4]
	s_waitcnt vmcnt(10)
	v_mad_u64_u32 v[39:40], null, s3, v24, v[8:9]
	v_lshlrev_b64 v[30:31], 2, v[31:32]
	v_add_nc_u32_e32 v8, 0x27f, v4
	v_add_co_ci_u32_e64 v19, s0, v44, v19, s0
	v_add_co_u32 v22, s0, v42, v22
	v_lshlrev_b64 v[32:33], 2, v[33:34]
	v_add_co_ci_u32_e64 v23, s0, v44, v23, s0
	v_add_co_u32 v30, s0, v42, v30
	v_mov_b32_e32 v36, v38
	v_mov_b32_e32 v38, v39
	v_mad_u64_u32 v[39:40], null, s2, v8, 0
	v_add_nc_u32_e32 v14, 0x2ca, v4
	v_add_co_ci_u32_e64 v31, s0, v44, v31, s0
	v_add_co_u32 v45, s0, v42, v32
	v_add_nc_u32_e32 v20, 0x315, v4
	v_add_co_ci_u32_e64 v46, s0, v44, v33, s0
	v_lshlrev_b64 v[32:33], 2, v[35:36]
	v_lshlrev_b64 v[34:35], 2, v[37:38]
	v_mad_u64_u32 v[36:37], null, s2, v14, 0
	v_mov_b32_e32 v3, v40
	v_mad_u64_u32 v[47:48], null, s2, v20, 0
	v_add_nc_u32_e32 v24, 0x3ab, v4
	v_add_co_u32 v49, s0, v42, v32
	v_mad_u64_u32 v[40:41], null, s3, v8, v[3:4]
	v_mov_b32_e32 v3, v37
	v_mov_b32_e32 v8, v48
	v_mad_u64_u32 v[56:57], null, s2, v24, 0
	v_add_co_ci_u32_e64 v50, s0, v44, v33, s0
	v_mad_u64_u32 v[37:38], null, s3, v14, v[3:4]
	v_add_nc_u32_e32 v14, 0x360, v4
	v_mad_u64_u32 v[53:54], null, s3, v20, v[8:9]
	v_add_co_u32 v51, s0, v42, v34
	v_mad_u64_u32 v[54:55], null, s2, v14, 0
	v_add_co_ci_u32_e64 v52, s0, v44, v35, s0
	s_clause 0x7
	global_load_dword v43, v[6:7], off
	global_load_dword v38, v[16:17], off
	;; [unrolled: 1-line block ×8, first 2 shown]
	v_lshlrev_b64 v[6:7], 2, v[39:40]
	v_mov_b32_e32 v48, v53
	v_mov_b32_e32 v3, v55
	v_add_co_u32 v6, s0, v42, v6
	v_mad_u64_u32 v[16:17], null, s3, v14, v[3:4]
	v_mov_b32_e32 v3, v57
	v_lshlrev_b64 v[17:18], 2, v[36:37]
	v_lshlrev_b64 v[22:23], 2, v[47:48]
	v_add_co_ci_u32_e64 v7, s0, v44, v7, s0
	v_mad_u64_u32 v[19:20], null, s3, v24, v[3:4]
	v_mov_b32_e32 v55, v16
	v_add_co_u32 v16, s0, v42, v17
	v_add_co_ci_u32_e64 v17, s0, v44, v18, s0
	v_lshlrev_b64 v[36:37], 2, v[54:55]
	v_mov_b32_e32 v57, v19
	v_add_co_u32 v18, s0, v42, v22
	v_add_co_ci_u32_e64 v19, s0, v44, v23, s0
	v_lshlrev_b64 v[22:23], 2, v[56:57]
	v_add_co_u32 v40, s0, v42, v36
	v_add_co_ci_u32_e64 v41, s0, v44, v37, s0
	v_add_co_u32 v22, s0, v42, v22
	v_add_co_ci_u32_e64 v23, s0, v44, v23, s0
	s_clause 0x4
	global_load_dword v36, v[6:7], off
	global_load_dword v37, v[16:17], off
	;; [unrolled: 1-line block ×5, first 2 shown]
	s_waitcnt vmcnt(12)
	v_lshrrev_b32_e32 v6, 16, v43
	s_waitcnt vmcnt(11)
	v_lshrrev_b32_e32 v24, 16, v38
	;; [unrolled: 2-line block ×13, first 2 shown]
.LBB0_11:
	s_or_b32 exec_lo, exec_lo, s4
	s_waitcnt vmcnt(12)
	v_lshrrev_b32_e32 v42, 16, v11
	s_waitcnt vmcnt(11)
	v_lshrrev_b32_e32 v53, 16, v5
	;; [unrolled: 2-line block ×13, first 2 shown]
.LBB0_12:
	s_or_b32 exec_lo, exec_lo, s1
	v_sub_f16_e32 v56, v53, v45
	v_add_f16_e32 v58, v29, v5
	v_sub_f16_e32 v59, v54, v46
	v_add_f16_e32 v60, v28, v9
	v_sub_f16_e32 v62, v52, v47
	v_pk_mul_f16 v61, 0xba95b770, v56 op_sel_hi:[1,0]
	v_pk_mul_f16 v64, 0xbb7bbbf1, v56 op_sel_hi:[1,0]
	;; [unrolled: 1-line block ×3, first 2 shown]
	v_add_f16_e32 v63, v27, v10
	v_pk_mul_f16 v67, 0x394eb3a8, v59 op_sel_hi:[1,0]
	v_pk_fma_f16 v66, 0x388b3b15, v58, v61 op_sel_hi:[1,0,1]
	v_pk_fma_f16 v68, 0xb5ac2fb7, v58, v64 op_sel_hi:[1,0,1]
	;; [unrolled: 1-line block ×3, first 2 shown]
	v_pk_mul_f16 v70, 0xb3a8bbf1, v62 op_sel_hi:[1,0]
	v_pk_fma_f16 v71, 0xb9fdbbc4, v60, v67 op_sel_hi:[1,0,1]
	v_pk_add_f16 v66, v66, v11 op_sel_hi:[1,0]
	v_pk_add_f16 v68, v68, v11 op_sel_hi:[1,0]
	v_mul_hi_u32 v57, 0xaaaaaaab, v2
	v_pk_fma_f16 v72, 0xbbc42fb7, v63, v70 op_sel_hi:[1,0,1]
	v_add_f16_e32 v73, v26, v12
	v_pk_add_f16 v66, v66, v69
	v_sub_f16_e32 v69, v51, v49
	v_pk_add_f16 v68, v68, v71
	v_pk_mul_f16 v71, 0x37703b7b, v62 op_sel_hi:[1,0]
	v_add_f16_e32 v79, v25, v13
	v_pk_add_f16 v66, v66, v72
	v_pk_mul_f16 v74, 0x394ebb7b, v69 op_sel_hi:[1,0]
	v_sub_f16_e32 v72, v48, v50
	v_lshrrev_b32_e32 v57, 1, v57
	v_pk_fma_f16 v75, 0x3b15b5ac, v63, v71 op_sel_hi:[1,0,1]
	v_pk_mul_f16 v76, 0xbbf13770, v69 op_sel_hi:[1,0]
	v_pk_fma_f16 v77, 0xb9fdb5ac, v73, v74 op_sel_hi:[1,0,1]
	v_pk_mul_f16 v80, 0x3bf1b94e, v72 op_sel_hi:[1,0]
	v_lshl_add_u32 v57, v57, 1, v57
	v_pk_add_f16 v68, v68, v75
	v_pk_fma_f16 v75, 0x2fb73b15, v73, v76 op_sel_hi:[1,0,1]
	v_pk_mul_f16 v78, 0x33a8ba95, v72 op_sel_hi:[1,0]
	v_pk_add_f16 v66, v66, v77
	v_pk_fma_f16 v77, 0x2fb7b9fd, v79, v80 op_sel_hi:[1,0,1]
	v_pk_mul_f16 v56, 0xb3a8b94e, v56 op_sel_hi:[1,0]
	v_pk_add_f16 v68, v68, v75
	v_pk_fma_f16 v75, 0xbbc4388b, v79, v78 op_sel_hi:[1,0,1]
	v_sub_nc_u32_e32 v57, v2, v57
	v_pk_add_f16 v2, v66, v77
	v_pk_fma_f16 v66, 0xbbc4b9fd, v58, v56 op_sel_hi:[1,0,1]
	v_pk_mul_f16 v59, 0x37703bf1, v59 op_sel_hi:[1,0]
	v_pk_add_f16 v68, v68, v75
	v_sub_f16_e32 v77, v44, v55
	v_pk_mul_f16 v62, 0xb94eba95, v62 op_sel_hi:[1,0]
	v_pk_add_f16 v66, v66, v11 op_sel_hi:[1,0]
	v_pk_fma_f16 v75, 0x3b152fb7, v60, v59 op_sel_hi:[1,0,1]
	v_pk_fma_f16 v56, 0xbbc4b9fd, v58, v56 op_sel_hi:[1,0,1] neg_lo:[0,0,1] neg_hi:[0,0,1]
	v_add_f16_e32 v81, v21, v15
	v_pk_mul_f16 v82, 0x3770b3a8, v77 op_sel_hi:[1,0]
	v_pk_mul_f16 v69, 0x3a9533a8, v69 op_sel_hi:[1,0]
	v_pk_add_f16 v66, v66, v75
	v_pk_fma_f16 v75, 0xb9fd388b, v63, v62 op_sel_hi:[1,0,1]
	v_pk_add_f16 v56, v56, v11 op_sel_hi:[1,0]
	v_pk_fma_f16 v59, 0x3b152fb7, v60, v59 op_sel_hi:[1,0,1] neg_lo:[0,0,1] neg_hi:[0,0,1]
	v_pk_fma_f16 v84, 0x3b15bbc4, v81, v82 op_sel_hi:[1,0,1]
	v_pk_mul_f16 v72, 0xbb7b3770, v72 op_sel_hi:[1,0]
	v_pk_add_f16 v66, v66, v75
	v_pk_fma_f16 v75, 0x388bbbc4, v73, v69 op_sel_hi:[1,0,1]
	v_pk_add_f16 v56, v56, v59
	v_pk_fma_f16 v59, 0xb9fd388b, v63, v62 op_sel_hi:[1,0,1] neg_lo:[0,0,1] neg_hi:[0,0,1]
	v_pk_fma_f16 v64, 0xb5ac2fb7, v58, v64 op_sel_hi:[1,0,1] neg_lo:[0,0,1] neg_hi:[0,0,1]
	v_pk_mul_f16 v83, 0x3a95b94e, v77 op_sel_hi:[1,0]
	v_pk_add_f16 v62, v66, v75
	v_pk_add_f16 v75, v2, v84
	;; [unrolled: 1-line block ×3, first 2 shown]
	v_pk_fma_f16 v56, 0x388bbbc4, v73, v69 op_sel_hi:[1,0,1] neg_lo:[0,0,1] neg_hi:[0,0,1]
	v_pk_fma_f16 v66, 0xb5ac3b15, v79, v72 op_sel_hi:[1,0,1]
	v_pk_fma_f16 v85, 0x388bb9fd, v81, v83 op_sel_hi:[1,0,1]
	v_mul_u32_u24_e32 v57, 0x3cf, v57
	v_cmp_gt_u32_e64 s0, 36, v4
	v_pk_add_f16 v2, v2, v56
	v_pk_fma_f16 v56, 0x388b3b15, v58, v61 op_sel_hi:[1,0,1] neg_lo:[0,0,1] neg_hi:[0,0,1]
	v_pk_add_f16 v59, v62, v66
	v_pk_add_f16 v62, v64, v11 op_sel_hi:[1,0]
	v_pk_fma_f16 v64, 0xb9fdbbc4, v60, v67 op_sel_hi:[1,0,1] neg_lo:[0,0,1] neg_hi:[0,0,1]
	v_pk_mul_f16 v66, 0x3bf1bb7b, v77 op_sel_hi:[1,0]
	v_pk_add_f16 v56, v56, v11 op_sel_hi:[1,0]
	v_add_f16_e32 v11, v11, v5
	v_pk_fma_f16 v58, 0xb5ac3b15, v79, v72 op_sel_hi:[1,0,1] neg_lo:[0,0,1] neg_hi:[0,0,1]
	v_pk_add_f16 v61, v62, v64
	v_pk_fma_f16 v62, 0x3b15b5ac, v63, v71 op_sel_hi:[1,0,1] neg_lo:[0,0,1] neg_hi:[0,0,1]
	v_pk_fma_f16 v60, 0xb5ac388b, v60, v65 op_sel_hi:[1,0,1] neg_lo:[0,0,1] neg_hi:[0,0,1]
	v_add_f16_e32 v11, v11, v9
	v_pk_add_f16 v2, v2, v58
	v_pk_fma_f16 v58, 0x2fb7b5ac, v81, v66 op_sel_hi:[1,0,1] neg_lo:[0,0,1] neg_hi:[0,0,1]
	v_pk_fma_f16 v64, 0x2fb7b5ac, v81, v66 op_sel_hi:[1,0,1]
	v_pk_add_f16 v61, v61, v62
	v_add_f16_e32 v11, v11, v10
	v_pk_add_f16 v56, v56, v60
	v_pk_fma_f16 v60, 0x2fb73b15, v73, v76 op_sel_hi:[1,0,1] neg_lo:[0,0,1] neg_hi:[0,0,1]
	v_pk_fma_f16 v62, 0xbbc42fb7, v63, v70 op_sel_hi:[1,0,1] neg_lo:[0,0,1] neg_hi:[0,0,1]
	v_pk_add_f16 v2, v2, v58
	v_sub_f16_e32 v70, v24, v3
	v_add_f16_e32 v11, v11, v12
	v_pk_add_f16 v76, v68, v85
	v_pk_add_f16 v77, v59, v64
	;; [unrolled: 1-line block ×3, first 2 shown]
	v_pk_fma_f16 v59, 0xbbc4388b, v79, v78 op_sel_hi:[1,0,1] neg_lo:[0,0,1] neg_hi:[0,0,1]
	v_alignbit_b32 v78, v2, v2, 16
	v_add_f16_e32 v2, v38, v41
	v_mul_f16_e32 v68, 0xb770, v70
	v_sub_f16_e32 v71, v23, v7
	v_add_f16_e32 v11, v11, v13
	v_pk_add_f16 v56, v56, v62
	v_pk_fma_f16 v60, 0xb9fdb5ac, v73, v74 op_sel_hi:[1,0,1] neg_lo:[0,0,1] neg_hi:[0,0,1]
	v_pk_add_f16 v59, v58, v59
	v_pk_fma_f16 v61, 0x388bb9fd, v81, v83 op_sel_hi:[1,0,1] neg_lo:[0,0,1] neg_hi:[0,0,1]
	v_fma_f16 v62, v2, 0x3b15, -v68
	v_add_f16_e32 v58, v35, v40
	v_mul_f16_e32 v69, 0xba95, v71
	v_sub_f16_e32 v72, v22, v8
	v_add_f16_e32 v11, v11, v15
	v_pk_add_f16 v56, v56, v60
	v_pk_fma_f16 v60, 0x2fb7b9fd, v79, v80 op_sel_hi:[1,0,1] neg_lo:[0,0,1] neg_hi:[0,0,1]
	v_pk_add_f16 v79, v59, v61
	v_add_f16_e32 v61, v43, v62
	v_fma_f16 v62, v58, 0x388b, -v69
	v_add_f16_e32 v59, v34, v39
	v_mul_f16_e32 v67, 0xbbf1, v72
	v_sub_f16_e32 v73, v20, v14
	v_add_f16_e32 v11, v11, v21
	v_pk_add_f16 v56, v56, v60
	v_add_f16_e32 v61, v61, v62
	v_fma_f16 v62, v59, 0x2fb7, -v67
	v_add_f16_e32 v60, v33, v37
	v_mul_f16_e32 v63, 0xbb7b, v73
	v_sub_f16_e32 v74, v19, v16
	v_add_f16_e32 v11, v25, v11
	v_add_f16_e32 v62, v61, v62
	;; [unrolled: 1-line block ×3, first 2 shown]
	v_fma_f16 v65, v60, 0xb5ac, -v63
	v_mul_f16_e32 v64, 0xb94e, v74
	v_sub_f16_e32 v66, v18, v17
	v_add_f16_e32 v11, v26, v11
	v_pk_fma_f16 v80, 0x3b15bbc4, v81, v82 op_sel_hi:[1,0,1] neg_lo:[0,0,1] neg_hi:[0,0,1]
	v_add_f16_e32 v81, v62, v65
	v_fma_f16 v82, v61, 0xb9fd, -v64
	v_add_f16_e32 v62, v30, v31
	v_mul_f16_e32 v65, 0xb3a8, v66
	v_add_f16_e32 v11, v27, v11
	v_mad_u32_u24 v83, v4, 26, 0
	v_add_f16_e32 v81, v81, v82
	v_pk_add_f16 v80, v56, v80
	v_fma_f16 v82, v62, 0xbbc4, -v65
	v_add_f16_e32 v84, v28, v11
	v_lshl_add_u32 v56, v57, 1, v83
	v_alignbit_b32 v79, v79, v79, 16
	v_alignbit_b32 v80, v80, v80, 16
	v_add_f16_e32 v11, v81, v82
	v_add_f16_e32 v81, v29, v84
	ds_write_b128 v56, v[75:78] offset:2
	ds_write_b64 v56, v[79:80] offset:18
	ds_write_b16 v56, v81
	s_and_saveexec_b32 s1, s0
	s_cbranch_execz .LBB0_14
; %bb.13:
	v_add_f16_e32 v75, v43, v38
	v_pk_mul_f16 v82, 0xb3a8b94e, v70 op_sel_hi:[1,0]
	v_pk_mul_f16 v88, 0xbb7bbbf1, v70 op_sel_hi:[1,0]
	v_mul_f16_e32 v70, 0xba95, v70
	v_mul_f16_e32 v76, 0x3b15, v2
	v_add_f16_e32 v75, v75, v35
	v_pk_mul_f16 v83, 0x37703bf1, v71 op_sel_hi:[1,0]
	v_pk_mul_f16 v89, 0x394eb3a8, v71 op_sel_hi:[1,0]
	v_mul_f16_e32 v94, 0x388b, v2
	v_mul_f16_e32 v71, 0xbb7b, v71
	v_add_f16_e32 v75, v75, v34
	v_fma_f16 v97, v2, 0x388b, -v70
	v_mul_f16_e32 v77, 0x388b, v58
	v_pk_mul_f16 v84, 0xb94eba95, v72 op_sel_hi:[1,0]
	v_pk_mul_f16 v90, 0x37703b7b, v72 op_sel_hi:[1,0]
	v_add_f16_e32 v75, v75, v33
	v_mul_f16_e32 v95, 0xb5ac, v58
	v_mul_f16_e32 v72, 0xb3a8, v72
	v_fma_f16 v99, v58, 0xb5ac, -v71
	v_add_f16_e32 v97, v43, v97
	v_add_f16_e32 v75, v75, v32
	v_perm_b32 v68, v70, v68, 0x5040100
	v_perm_b32 v70, v94, v76, 0x5040100
	v_mul_f16_e32 v78, 0x2fb7, v59
	v_pk_mul_f16 v85, 0x3a9533a8, v73 op_sel_hi:[1,0]
	v_add_f16_e32 v75, v75, v30
	v_pk_mul_f16 v91, 0xbbf13770, v73 op_sel_hi:[1,0]
	v_mul_f16_e32 v96, 0xbbc4, v59
	v_mul_f16_e32 v73, 0x394e, v73
	v_fma_f16 v100, v59, 0xbbc4, -v72
	v_add_f16_e32 v75, v75, v31
	v_add_f16_e32 v97, v97, v99
	v_perm_b32 v69, v71, v69, 0x5040100
	v_pk_add_f16 v68, v68, v70
	v_mul_f16_e32 v79, 0xb5ac, v60
	v_add_f16_e32 v75, v36, v75
	v_mul_f16_e32 v98, 0xb9fd, v60
	v_fma_f16 v99, v60, 0xb9fd, -v73
	v_add_f16_e32 v76, v97, v100
	v_pk_add_f16 v68, v43, v68 op_sel_hi:[0,1]
	v_add_f16_e32 v75, v37, v75
	v_perm_b32 v67, v72, v67, 0x5040100
	v_perm_b32 v72, v96, v78, 0x5040100
	v_mul_f16_e32 v80, 0xb9fd, v61
	v_pk_mul_f16 v86, 0xbb7b3770, v74 op_sel_hi:[1,0]
	v_add_f16_e32 v75, v39, v75
	v_pk_mul_f16 v92, 0x33a8ba95, v74 op_sel_hi:[1,0]
	v_mul_f16_e32 v74, 0x3bf1, v74
	v_add_f16_e32 v70, v76, v99
	v_mul_f16_e32 v76, 0x2fb7, v61
	v_add_f16_e32 v71, v40, v75
	v_perm_b32 v75, v95, v77, 0x5040100
	v_pk_add_f16 v67, v67, v72
	v_pk_fma_f16 v72, 0xb9fdbbc4, v58, v89 op_sel_hi:[1,0,1]
	v_perm_b32 v63, v73, v63, 0x5040100
	v_perm_b32 v73, v98, v79, 0x5040100
	v_pk_add_f16 v69, v69, v75
	v_pk_fma_f16 v75, 0xb5ac2fb7, v2, v88 op_sel_hi:[1,0,1]
	v_perm_b32 v64, v74, v64, 0x5040100
	v_mul_f16_e32 v81, 0xbbc4, v62
	v_pk_add_f16 v63, v63, v73
	v_pk_add_f16 v68, v68, v69
	v_pk_add_f16 v69, v43, v75 op_sel_hi:[0,1]
	v_pk_mul_f16 v87, 0x3bf1bb7b, v66 op_sel_hi:[1,0]
	v_pk_mul_f16 v93, 0x3a95b94e, v66 op_sel_hi:[1,0]
	v_mul_f16_e32 v77, 0x3b15, v62
	v_pk_add_f16 v67, v68, v67
	v_pk_add_f16 v68, v69, v72
	v_pk_fma_f16 v69, 0x3b15b5ac, v59, v90 op_sel_hi:[1,0,1]
	v_perm_b32 v72, v76, v80, 0x5040100
	v_mul_f16_e32 v66, 0x3770, v66
	v_pk_add_f16 v63, v67, v63
	v_fma_f16 v94, v61, 0x2fb7, -v74
	v_pk_add_f16 v68, v68, v69
	v_pk_fma_f16 v69, 0x2fb73b15, v60, v91 op_sel_hi:[1,0,1]
	v_pk_add_f16 v64, v64, v72
	v_fma_f16 v75, v62, 0x3b15, -v66
	v_perm_b32 v65, v66, v65, 0x5040100
	v_perm_b32 v66, v77, v81, 0x5040100
	v_pk_add_f16 v67, v68, v69
	v_pk_fma_f16 v68, 0xbbc4388b, v61, v92 op_sel_hi:[1,0,1]
	v_pk_add_f16 v63, v63, v64
	v_pk_fma_f16 v64, 0xbbc4b9fd, v2, v82 op_sel_hi:[1,0,1] neg_lo:[0,0,1] neg_hi:[0,0,1]
	v_pk_add_f16 v65, v65, v66
	v_pk_fma_f16 v66, 0xb5ac2fb7, v2, v88 op_sel_hi:[1,0,1] neg_lo:[0,0,1] neg_hi:[0,0,1]
	v_pk_add_f16 v67, v67, v68
	v_pk_fma_f16 v2, 0xbbc4b9fd, v2, v82 op_sel_hi:[1,0,1]
	v_pk_add_f16 v64, v43, v64 op_sel_hi:[0,1]
	v_pk_fma_f16 v68, 0x3b152fb7, v58, v83 op_sel_hi:[1,0,1] neg_lo:[0,0,1] neg_hi:[0,0,1]
	v_pk_add_f16 v66, v43, v66 op_sel_hi:[0,1]
	v_pk_fma_f16 v69, 0xb9fdbbc4, v58, v89 op_sel_hi:[1,0,1] neg_lo:[0,0,1] neg_hi:[0,0,1]
	v_pk_add_f16 v2, v43, v2 op_sel_hi:[0,1]
	v_pk_fma_f16 v43, 0x3b152fb7, v58, v83 op_sel_hi:[1,0,1]
	v_pk_add_f16 v58, v64, v68
	v_pk_fma_f16 v64, 0xb9fd388b, v59, v84 op_sel_hi:[1,0,1] neg_lo:[0,0,1] neg_hi:[0,0,1]
	v_pk_add_f16 v66, v66, v69
	v_pk_fma_f16 v68, 0x3b15b5ac, v59, v90 op_sel_hi:[1,0,1] neg_lo:[0,0,1] neg_hi:[0,0,1]
	v_pk_add_f16 v2, v2, v43
	v_pk_fma_f16 v43, 0xb9fd388b, v59, v84 op_sel_hi:[1,0,1]
	v_pk_add_f16 v58, v58, v64
	v_pk_fma_f16 v59, 0x388bbbc4, v60, v85 op_sel_hi:[1,0,1] neg_lo:[0,0,1] neg_hi:[0,0,1]
	v_pk_add_f16 v64, v66, v68
	v_pk_fma_f16 v66, 0x2fb73b15, v60, v91 op_sel_hi:[1,0,1] neg_lo:[0,0,1] neg_hi:[0,0,1]
	v_pk_add_f16 v2, v2, v43
	;; [unrolled: 6-line block ×3, first 2 shown]
	v_pk_fma_f16 v43, 0xb5ac3b15, v61, v86 op_sel_hi:[1,0,1]
	v_pk_add_f16 v58, v58, v59
	v_pk_fma_f16 v59, 0x2fb7b5ac, v62, v87 op_sel_hi:[1,0,1] neg_lo:[0,0,1] neg_hi:[0,0,1]
	v_add_f16_e32 v70, v70, v94
	v_pk_add_f16 v60, v60, v64
	v_pk_fma_f16 v61, 0x388bb9fd, v62, v93 op_sel_hi:[1,0,1] neg_lo:[0,0,1] neg_hi:[0,0,1]
	v_pk_fma_f16 v64, 0x388bb9fd, v62, v93 op_sel_hi:[1,0,1]
	v_pk_add_f16 v2, v2, v43
	v_pk_fma_f16 v43, 0x2fb7b5ac, v62, v87 op_sel_hi:[1,0,1]
	v_pk_add_f16 v62, v58, v59
	v_add_f16_e32 v70, v70, v75
	v_pk_add_f16 v66, v60, v61
	v_add_f16_e32 v71, v41, v71
	v_pk_add_f16 v58, v63, v65
	v_pk_add_f16 v59, v67, v64
	v_pk_add_f16 v60, v2, v43
	v_alignbit_b32 v61, v62, v62, 16
	v_alignbit_b32 v62, v66, v66, 16
	v_perm_b32 v63, v11, v70, 0x5040100
	ds_write_b16 v56, v71 offset:1014
	ds_write_b128 v56, v[58:61] offset:1016
	ds_write_b64 v56, v[62:63] offset:1032
.LBB0_14:
	s_or_b32 exec_lo, exec_lo, s1
	v_add_f16_e32 v2, v42, v53
	v_sub_f16_e32 v5, v5, v29
	v_add_f16_e32 v43, v45, v53
	v_sub_f16_e32 v9, v9, v28
	v_sub_f16_e32 v15, v15, v21
	v_add_f16_e32 v2, v2, v54
	v_pk_mul_f16 v21, 0xba95b770, v5 op_sel_hi:[1,0]
	v_add_f16_e32 v29, v46, v54
	v_sub_f16_e32 v10, v10, v27
	v_sub_f16_e32 v13, v13, v25
	v_add_f16_e32 v2, v2, v52
	v_pk_mul_f16 v25, 0xbb7bba95, v9 op_sel_hi:[1,0]
	v_pk_fma_f16 v59, 0x388b3b15, v43, v21 op_sel_hi:[1,0,1] neg_lo:[0,0,1] neg_hi:[0,0,1]
	v_pk_fma_f16 v21, 0x388b3b15, v43, v21 op_sel_hi:[1,0,1]
	v_add_f16_e32 v28, v47, v52
	v_add_f16_e32 v2, v2, v51
	;; [unrolled: 1-line block ×3, first 2 shown]
	v_sub_f16_e32 v12, v12, v26
	v_pk_mul_f16 v51, 0xb3a8bbf1, v10 op_sel_hi:[1,0]
	v_pk_fma_f16 v60, 0xb5ac388b, v29, v25 op_sel_hi:[1,0,1] neg_lo:[0,0,1] neg_hi:[0,0,1]
	v_add_f16_e32 v2, v2, v48
	v_pk_fma_f16 v25, 0xb5ac388b, v29, v25 op_sel_hi:[1,0,1]
	v_pk_add_f16 v59, v59, v42 op_sel_hi:[1,0]
	v_pk_add_f16 v21, v21, v42 op_sel_hi:[1,0]
	v_add_f16_e32 v26, v50, v48
	v_add_f16_e32 v2, v2, v44
	v_pk_mul_f16 v52, 0x394ebb7b, v12 op_sel_hi:[1,0]
	v_pk_mul_f16 v48, 0x3bf1b94e, v13 op_sel_hi:[1,0]
	;; [unrolled: 1-line block ×3, first 2 shown]
	v_pk_fma_f16 v61, 0xbbc42fb7, v28, v51 op_sel_hi:[1,0,1] neg_lo:[0,0,1] neg_hi:[0,0,1]
	v_add_f16_e32 v2, v2, v55
	v_pk_fma_f16 v51, 0xbbc42fb7, v28, v51 op_sel_hi:[1,0,1]
	v_pk_add_f16 v59, v59, v60
	v_pk_add_f16 v21, v21, v25
	v_add_f16_e32 v68, v55, v44
	v_add_f16_e32 v2, v50, v2
	v_pk_mul_f16 v58, 0x394eb3a8, v9 op_sel_hi:[1,0]
	v_pk_fma_f16 v55, 0xb9fdb5ac, v27, v52 op_sel_hi:[1,0,1] neg_lo:[0,0,1] neg_hi:[0,0,1]
	v_pk_fma_f16 v50, 0x2fb7b9fd, v26, v48 op_sel_hi:[1,0,1] neg_lo:[0,0,1] neg_hi:[0,0,1]
	v_pk_add_f16 v21, v21, v51
	v_add_f16_e32 v2, v49, v2
	v_pk_fma_f16 v49, 0xb9fdb5ac, v27, v52 op_sel_hi:[1,0,1]
	v_pk_add_f16 v52, v59, v61
	v_pk_mul_f16 v53, 0x3770b3a8, v15 op_sel_hi:[1,0]
	v_pk_mul_f16 v44, 0x37703b7b, v10 op_sel_hi:[1,0]
	v_add_f16_e32 v2, v47, v2
	v_pk_fma_f16 v47, 0x2fb7b9fd, v26, v48 op_sel_hi:[1,0,1]
	v_pk_fma_f16 v48, 0xb5ac2fb7, v43, v54 op_sel_hi:[1,0,1] neg_lo:[0,0,1] neg_hi:[0,0,1]
	v_pk_add_f16 v51, v52, v55
	v_pk_add_f16 v21, v21, v49
	v_add_f16_e32 v2, v46, v2
	v_pk_fma_f16 v46, 0xb9fdbbc4, v29, v58 op_sel_hi:[1,0,1] neg_lo:[0,0,1] neg_hi:[0,0,1]
	v_pk_add_f16 v48, v48, v42 op_sel_hi:[1,0]
	v_pk_fma_f16 v25, 0x3b15bbc4, v68, v53 op_sel_hi:[1,0,1] neg_lo:[0,0,1] neg_hi:[0,0,1]
	v_pk_add_f16 v49, v51, v50
	v_add_f16_e32 v73, v45, v2
	v_pk_add_f16 v2, v21, v47
	v_pk_fma_f16 v21, 0x3b15bbc4, v68, v53 op_sel_hi:[1,0,1]
	v_pk_add_f16 v45, v48, v46
	v_pk_fma_f16 v46, 0x3b15b5ac, v28, v44 op_sel_hi:[1,0,1] neg_lo:[0,0,1] neg_hi:[0,0,1]
	v_pk_mul_f16 v47, 0xbbf13770, v12 op_sel_hi:[1,0]
	v_pk_add_f16 v67, v49, v25
	v_pk_add_f16 v72, v2, v21
	v_pk_fma_f16 v2, 0xb5ac2fb7, v43, v54 op_sel_hi:[1,0,1]
	v_pk_add_f16 v21, v45, v46
	v_pk_fma_f16 v25, 0x2fb73b15, v27, v47 op_sel_hi:[1,0,1] neg_lo:[0,0,1] neg_hi:[0,0,1]
	v_pk_mul_f16 v45, 0x33a8ba95, v13 op_sel_hi:[1,0]
	v_pk_mul_f16 v5, 0xb3a8b94e, v5 op_sel_hi:[1,0]
	v_pk_add_f16 v2, v2, v42 op_sel_hi:[1,0]
	v_pk_fma_f16 v46, 0xb9fdbbc4, v29, v58 op_sel_hi:[1,0,1]
	v_pk_add_f16 v21, v21, v25
	v_pk_fma_f16 v25, 0xbbc4388b, v26, v45 op_sel_hi:[1,0,1] neg_lo:[0,0,1] neg_hi:[0,0,1]
	v_pk_fma_f16 v48, 0xbbc4b9fd, v43, v5 op_sel_hi:[1,0,1] neg_lo:[0,0,1] neg_hi:[0,0,1]
	v_pk_mul_f16 v9, 0x37703bf1, v9 op_sel_hi:[1,0]
	v_pk_add_f16 v2, v2, v46
	v_pk_fma_f16 v44, 0x3b15b5ac, v28, v44 op_sel_hi:[1,0,1]
	v_pk_add_f16 v69, v21, v25
	v_pk_add_f16 v21, v48, v42 op_sel_hi:[1,0]
	v_pk_fma_f16 v25, 0x3b152fb7, v29, v9 op_sel_hi:[1,0,1] neg_lo:[0,0,1] neg_hi:[0,0,1]
	v_pk_mul_f16 v10, 0xb94eba95, v10 op_sel_hi:[1,0]
	v_pk_add_f16 v2, v2, v44
	v_pk_fma_f16 v44, 0x2fb73b15, v27, v47 op_sel_hi:[1,0,1]
	v_pk_mul_f16 v12, 0x3a9533a8, v12 op_sel_hi:[1,0]
	v_pk_add_f16 v21, v21, v25
	v_pk_fma_f16 v25, 0xb9fd388b, v28, v10 op_sel_hi:[1,0,1] neg_lo:[0,0,1] neg_hi:[0,0,1]
	v_pk_fma_f16 v5, 0xbbc4b9fd, v43, v5 op_sel_hi:[1,0,1]
	v_pk_add_f16 v2, v2, v44
	v_pk_fma_f16 v43, 0xbbc4388b, v26, v45 op_sel_hi:[1,0,1]
	v_pk_mul_f16 v13, 0xbb7b3770, v13 op_sel_hi:[1,0]
	v_pk_add_f16 v21, v21, v25
	v_pk_fma_f16 v25, 0x388bbbc4, v27, v12 op_sel_hi:[1,0,1] neg_lo:[0,0,1] neg_hi:[0,0,1]
	v_pk_add_f16 v5, v5, v42 op_sel_hi:[1,0]
	v_pk_fma_f16 v9, 0x3b152fb7, v29, v9 op_sel_hi:[1,0,1]
	v_pk_add_f16 v71, v2, v43
	v_sub_f16_e32 v52, v38, v41
	v_pk_add_f16 v2, v21, v25
	v_pk_fma_f16 v21, 0xb5ac3b15, v26, v13 op_sel_hi:[1,0,1] neg_lo:[0,0,1] neg_hi:[0,0,1]
	v_pk_add_f16 v5, v5, v9
	v_pk_fma_f16 v9, 0xb9fd388b, v28, v10 op_sel_hi:[1,0,1]
	v_pk_mul_f16 v46, 0x3a95b94e, v15 op_sel_hi:[1,0]
	v_pk_mul_f16 v75, 0x3bf1bb7b, v15 op_sel_hi:[1,0]
	v_pk_add_f16 v76, v2, v21
	v_add_f16_e32 v54, v24, v3
	v_pk_add_f16 v2, v5, v9
	v_pk_fma_f16 v5, 0x388bbbc4, v27, v12 op_sel_hi:[1,0,1]
	v_pk_mul_f16 v15, 0xba95b770, v52 op_sel_hi:[1,0]
	v_sub_f16_e32 v58, v35, v40
	v_add_f16_e32 v59, v23, v7
	v_sub_f16_e32 v60, v34, v39
	v_pk_add_f16 v5, v2, v5
	v_pk_fma_f16 v2, 0x388b3b15, v54, v15 op_sel_hi:[1,0,1]
	v_pk_mul_f16 v49, 0xbb7bba95, v58 op_sel_hi:[1,0]
	v_add_f16_e32 v65, v22, v8
	v_pk_mul_f16 v51, 0xb3a8bbf1, v60 op_sel_hi:[1,0]
	v_sub_f16_e32 v66, v33, v37
	v_pk_add_f16 v2, v6, v2 op_sel_hi:[0,1]
	v_pk_fma_f16 v9, 0xb5ac388b, v59, v49 op_sel_hi:[1,0,1]
	v_add_f16_e32 v61, v20, v14
	v_pk_fma_f16 v10, 0xbbc42fb7, v65, v51 op_sel_hi:[1,0,1]
	v_pk_mul_f16 v53, 0x394ebb7b, v66 op_sel_hi:[1,0]
	v_lshlrev_b32_e32 v12, 1, v57
	v_pk_add_f16 v9, v2, v9
	v_lshlrev_b32_e32 v2, 1, v4
	v_pk_fma_f16 v70, 0x388bb9fd, v68, v46 op_sel_hi:[1,0,1] neg_lo:[0,0,1] neg_hi:[0,0,1]
	v_pk_fma_f16 v74, 0x388bb9fd, v68, v46 op_sel_hi:[1,0,1]
	v_pk_fma_f16 v13, 0xb5ac3b15, v26, v13 op_sel_hi:[1,0,1]
	v_pk_add_f16 v9, v9, v10
	v_pk_fma_f16 v10, 0xb9fdb5ac, v61, v53 op_sel_hi:[1,0,1]
	v_add_nc_u32_e32 v21, 0, v2
	v_sub_f16_e32 v63, v32, v36
	v_sub_f16_e32 v64, v30, v31
	s_waitcnt lgkmcnt(0)
	v_pk_add_f16 v78, v9, v10
	v_add_nc_u32_e32 v10, v21, v12
	v_add3_u32 v9, 0, v12, v2
	s_barrier
	buffer_gl0_inv
	ds_read_u16 v41, v10 offset:468
	ds_read_u16 v29, v10 offset:546
	ds_read_u16 v28, v9
	ds_read_u16 v26, v10 offset:78
	ds_read_u16 v25, v10 offset:156
	;; [unrolled: 1-line block ×22, first 2 shown]
	v_add_f16_e32 v62, v19, v16
	v_pk_mul_f16 v55, 0x3bf1b94e, v63 op_sel_hi:[1,0]
	v_add_f16_e32 v57, v18, v17
	v_pk_mul_f16 v50, 0x3770b3a8, v64 op_sel_hi:[1,0]
	v_pk_add_f16 v5, v5, v13
	v_pk_fma_f16 v13, 0x2fb7b5ac, v68, v75 op_sel_hi:[1,0,1]
	v_pk_fma_f16 v79, 0x2fb7b9fd, v62, v55 op_sel_hi:[1,0,1]
	v_pk_fma_f16 v77, 0x2fb7b5ac, v68, v75 op_sel_hi:[1,0,1] neg_lo:[0,0,1] neg_hi:[0,0,1]
	v_pk_add_f16 v68, v69, v70
	v_pk_add_f16 v71, v71, v74
	;; [unrolled: 1-line block ×4, first 2 shown]
	v_pk_fma_f16 v78, 0x3b15bbc4, v57, v50 op_sel_hi:[1,0,1]
	v_add_nc_u32_e32 v5, 39, v4
	v_pk_add_f16 v69, v76, v77
	v_alignbit_b32 v70, v70, v70, 16
	v_alignbit_b32 v71, v71, v71, 16
	v_pk_add_f16 v13, v75, v78
	v_alignbit_b32 v72, v72, v72, 16
	s_waitcnt lgkmcnt(0)
	s_barrier
	buffer_gl0_inv
	ds_write_b16 v56, v73
	ds_write_b128 v56, v[67:70] offset:2
	ds_write_b64 v56, v[71:72] offset:18
	s_and_saveexec_b32 s1, s0
	s_cbranch_execz .LBB0_16
; %bb.15:
	v_add_f16_e32 v24, v6, v24
	v_pack_b32_f16 v56, v54, v54
	v_pk_mul_f16 v54, 0x388b3b15, v54 op_sel_hi:[1,0]
	v_pack_b32_f16 v52, v52, v52
	v_perm_b32 v6, v6, v6, 0x5040100
	v_add_f16_e32 v23, v24, v23
	v_pack_b32_f16 v24, v59, v59
	v_pk_mul_f16 v59, 0xb5ac388b, v59 op_sel_hi:[1,0]
	v_pk_add_f16 v15, v54, v15 neg_lo:[0,1] neg_hi:[0,1]
	v_pack_b32_f16 v58, v58, v58
	v_add_f16_e32 v22, v23, v22
	v_pk_mul_f16 v23, 0xbbc42fb7, v65 op_sel_hi:[1,0]
	v_pack_b32_f16 v67, v65, v65
	v_pack_b32_f16 v65, v61, v61
	v_pk_mul_f16 v61, 0xb9fdb5ac, v61 op_sel_hi:[1,0]
	v_add_f16_e32 v20, v22, v20
	v_pk_add_f16 v23, v23, v51 neg_lo:[0,1] neg_hi:[0,1]
	v_pk_mul_f16 v51, 0xbb7bbbf1, v52
	v_pk_add_f16 v15, v6, v15
	v_pack_b32_f16 v60, v60, v60
	v_add_f16_e32 v19, v20, v19
	v_pack_b32_f16 v22, v66, v66
	v_pack_b32_f16 v66, v62, v62
	v_pk_mul_f16 v62, 0x2fb7b9fd, v62 op_sel_hi:[1,0]
	v_pk_fma_f16 v54, 0xb5ac2fb7, v56, v51 neg_lo:[0,0,1] neg_hi:[0,0,1]
	v_add_f16_e32 v18, v19, v18
	v_pk_add_f16 v19, v59, v49 neg_lo:[0,1] neg_hi:[0,1]
	v_pk_add_f16 v49, v61, v53 neg_lo:[0,1] neg_hi:[0,1]
	v_pk_mul_f16 v53, 0x394eb3a8, v58
	v_pack_b32_f16 v20, v57, v57
	v_add_f16_e32 v17, v18, v17
	v_pk_add_f16 v15, v15, v19
	v_pk_add_f16 v18, v62, v55 neg_lo:[0,1] neg_hi:[0,1]
	v_pk_fma_f16 v55, 0xb9fdbbc4, v24, v53 neg_lo:[0,0,1] neg_hi:[0,0,1]
	v_pk_add_f16 v19, v6, v54
	v_add_f16_e32 v16, v16, v17
	v_pk_mul_f16 v17, 0x37703b7b, v60
	v_pk_add_f16 v15, v15, v23
	v_pk_mul_f16 v57, 0x3b15bbc4, v57 op_sel_hi:[1,0]
	v_pk_add_f16 v19, v19, v55
	v_add_f16_e32 v14, v14, v16
	v_pk_mul_f16 v16, 0xbbf13770, v22
	v_pk_fma_f16 v54, 0x3b15b5ac, v67, v17 neg_lo:[0,0,1] neg_hi:[0,0,1]
	v_pk_add_f16 v15, v15, v49
	v_pk_fma_f16 v49, 0xb5ac2fb7, v56, v51
	v_add_f16_e32 v8, v8, v14
	v_pk_add_f16 v14, v57, v50 neg_lo:[0,1] neg_hi:[0,1]
	v_pk_fma_f16 v23, 0x2fb73b15, v65, v16 neg_lo:[0,0,1] neg_hi:[0,0,1]
	v_pk_add_f16 v19, v19, v54
	v_pk_add_f16 v15, v15, v18
	v_pk_fma_f16 v17, 0x3b15b5ac, v67, v17
	v_pk_mul_f16 v51, 0xb94eba95, v60
	v_pack_b32_f16 v63, v63, v63
	v_pk_add_f16 v18, v19, v23
	v_pk_add_f16 v19, v6, v49
	v_pk_fma_f16 v23, 0xb9fdbbc4, v24, v53
	v_pk_add_f16 v14, v15, v14
	v_pk_mul_f16 v15, 0xb3a8b94e, v52
	v_pk_mul_f16 v49, 0x37703bf1, v58
	v_pk_fma_f16 v16, 0x2fb73b15, v65, v16
	v_pk_add_f16 v19, v19, v23
	v_pk_mul_f16 v22, 0x3a9533a8, v22
	v_pk_fma_f16 v23, 0xbbc4b9fd, v56, v15
	v_pk_fma_f16 v15, 0xbbc4b9fd, v56, v15 neg_lo:[0,0,1] neg_hi:[0,0,1]
	v_add_f16_e32 v7, v7, v8
	v_pk_add_f16 v17, v19, v17
	v_pk_mul_f16 v8, 0x33a8ba95, v63
	v_pk_add_f16 v19, v6, v23
	v_pk_fma_f16 v23, 0x3b152fb7, v24, v49
	v_pk_add_f16 v6, v6, v15
	v_pk_fma_f16 v15, 0x3b152fb7, v24, v49 neg_lo:[0,0,1] neg_hi:[0,0,1]
	v_pack_b32_f16 v64, v64, v64
	v_pk_add_f16 v16, v17, v16
	v_pk_add_f16 v19, v19, v23
	v_pk_fma_f16 v23, 0xb9fd388b, v67, v51
	v_pk_add_f16 v6, v6, v15
	v_pk_fma_f16 v15, 0xb9fd388b, v67, v51 neg_lo:[0,0,1] neg_hi:[0,0,1]
	v_add_f16_e32 v3, v3, v7
	v_pk_fma_f16 v7, 0xbbc4388b, v66, v8 neg_lo:[0,0,1] neg_hi:[0,0,1]
	v_pk_add_f16 v17, v19, v23
	v_pk_fma_f16 v19, 0x388bbbc4, v65, v22
	v_pk_mul_f16 v23, 0xbb7b3770, v63
	v_pk_add_f16 v6, v6, v15
	v_pk_fma_f16 v15, 0x388bbbc4, v65, v22 neg_lo:[0,0,1] neg_hi:[0,0,1]
	v_pk_fma_f16 v8, 0xbbc4388b, v66, v8
	v_pk_add_f16 v17, v17, v19
	v_pk_fma_f16 v19, 0xb5ac3b15, v66, v23
	v_pk_mul_f16 v22, 0x3bf1bb7b, v64
	v_pk_add_f16 v7, v18, v7
	v_pk_mul_f16 v18, 0x3a95b94e, v64
	v_pk_add_f16 v6, v6, v15
	v_pk_fma_f16 v15, 0xb5ac3b15, v66, v23 neg_lo:[0,0,1] neg_hi:[0,0,1]
	v_pk_add_f16 v8, v16, v8
	v_pk_add_f16 v16, v17, v19
	v_pk_fma_f16 v17, 0x2fb7b5ac, v20, v22
	v_pk_fma_f16 v50, 0x388bb9fd, v20, v18 neg_lo:[0,0,1] neg_hi:[0,0,1]
	v_pk_fma_f16 v18, 0x388bb9fd, v20, v18
	v_pk_fma_f16 v19, 0x2fb7b5ac, v20, v22 neg_lo:[0,0,1] neg_hi:[0,0,1]
	v_mul_u32_u24_e32 v20, 26, v5
	v_pk_add_f16 v6, v6, v15
	v_pk_add_f16 v17, v16, v17
	;; [unrolled: 1-line block ×4, first 2 shown]
	v_add3_u32 v18, 0, v20, v12
	v_pk_add_f16 v16, v6, v19
	v_alignbit_b32 v17, v17, v17, 16
	v_alignbit_b32 v6, v8, v8, 16
	;; [unrolled: 1-line block ×3, first 2 shown]
	ds_write_b16 v18, v3
	ds_write_b128 v18, v[14:17] offset:2
	ds_write_b64 v18, v[6:7] offset:18
.LBB0_16:
	s_or_b32 exec_lo, exec_lo, s1
	v_and_b32_e32 v3, 0xff, v4
	v_and_b32_e32 v6, 0xff, v5
	v_add_nc_u32_e32 v8, 0x4e, v4
	s_waitcnt lgkmcnt(0)
	s_barrier
	v_mul_lo_u16 v3, 0x4f, v3
	buffer_gl0_inv
	v_mov_b32_e32 v76, 1
	v_cmp_gt_u32_e64 s0, 13, v4
	v_lshrrev_b16 v16, 10, v3
	v_mul_lo_u16 v3, 0x4f, v6
	v_mul_lo_u16 v6, v16, 13
	v_lshrrev_b16 v22, 10, v3
	v_mov_b32_e32 v3, 4
	v_and_b32_e32 v16, 0xffff, v16
	v_sub_nc_u16 v23, v4, v6
	v_mul_lo_u16 v6, v22, 13
	v_and_b32_e32 v22, 0xffff, v22
	v_mad_u32_u24 v16, 0x82, v16, 0
	v_lshlrev_b32_sdwa v7, v3, v23 dst_sel:DWORD dst_unused:UNUSED_PAD src0_sel:DWORD src1_sel:BYTE_0
	v_sub_nc_u16 v24, v5, v6
	v_and_b32_e32 v6, 0xff, v8
	v_mad_u32_u24 v22, 0x82, v22, 0
	v_lshlrev_b32_sdwa v23, v76, v23 dst_sel:DWORD dst_unused:UNUSED_PAD src0_sel:DWORD src1_sel:BYTE_0
	global_load_dwordx4 v[54:57], v7, s[8:9]
	v_lshlrev_b32_sdwa v14, v3, v24 dst_sel:DWORD dst_unused:UNUSED_PAD src0_sel:DWORD src1_sel:BYTE_0
	v_mul_lo_u16 v6, 0x4f, v6
	v_lshlrev_b32_sdwa v24, v76, v24 dst_sel:DWORD dst_unused:UNUSED_PAD src0_sel:DWORD src1_sel:BYTE_0
	v_add3_u32 v53, v16, v23, v12
	global_load_dwordx4 v[58:61], v14, s[8:9]
	v_add_nc_u32_e32 v7, 0x75, v4
	v_lshrrev_b16 v49, 10, v6
	v_add_nc_u32_e32 v6, 0x9c, v4
	v_and_b32_e32 v14, 0xff, v7
	v_mul_lo_u16 v18, v49, 13
	v_and_b32_e32 v15, 0xff, v6
	v_and_b32_e32 v49, 0xffff, v49
	v_mul_lo_u16 v17, 0x4f, v14
	v_sub_nc_u16 v52, v8, v18
	v_mad_u32_u24 v49, 0x82, v49, 0
	v_lshrrev_b16 v50, 10, v17
	v_mul_lo_u16 v17, 0x4f, v15
	v_lshlrev_b32_sdwa v19, v3, v52 dst_sel:DWORD dst_unused:UNUSED_PAD src0_sel:DWORD src1_sel:BYTE_0
	v_lshlrev_b32_sdwa v16, v76, v52 dst_sel:DWORD dst_unused:UNUSED_PAD src0_sel:DWORD src1_sel:BYTE_0
	v_mul_lo_u16 v18, v50, 13
	v_lshrrev_b16 v51, 10, v17
	global_load_dwordx4 v[69:72], v19, s[8:9]
	v_and_b32_e32 v50, 0xffff, v50
	v_add3_u32 v52, v49, v16, v12
	v_sub_nc_u16 v62, v7, v18
	v_mul_lo_u16 v17, v51, 13
	v_and_b32_e32 v51, 0xffff, v51
	v_mad_u32_u24 v50, 0x82, v50, 0
	v_lshlrev_b32_sdwa v18, v3, v62 dst_sel:DWORD dst_unused:UNUSED_PAD src0_sel:DWORD src1_sel:BYTE_0
	v_sub_nc_u16 v63, v6, v17
	v_mad_u32_u24 v77, 0x82, v51, 0
	v_add3_u32 v51, v22, v24, v12
	v_lshlrev_b32_sdwa v22, v76, v62 dst_sel:DWORD dst_unused:UNUSED_PAD src0_sel:DWORD src1_sel:BYTE_0
	global_load_dwordx4 v[91:94], v18, s[8:9]
	v_lshlrev_b32_sdwa v3, v3, v63 dst_sel:DWORD dst_unused:UNUSED_PAD src0_sel:DWORD src1_sel:BYTE_0
	v_lshlrev_b32_sdwa v23, v76, v63 dst_sel:DWORD dst_unused:UNUSED_PAD src0_sel:DWORD src1_sel:BYTE_0
	v_add3_u32 v50, v50, v22, v12
	global_load_dwordx4 v[95:98], v3, s[8:9]
	ds_read_u16 v99, v10 offset:546
	ds_read_u16 v20, v9
	ds_read_u16 v18, v10 offset:78
	ds_read_u16 v17, v10 offset:156
	;; [unrolled: 1-line block ×23, first 2 shown]
	v_add3_u32 v49, v77, v23, v12
	s_waitcnt vmcnt(0) lgkmcnt(0)
	s_barrier
	buffer_gl0_inv
	v_mul_f16_sdwa v87, v66, v54 dst_sel:DWORD dst_unused:UNUSED_PAD src0_sel:DWORD src1_sel:WORD_1
	v_mul_f16_sdwa v16, v46, v54 dst_sel:DWORD dst_unused:UNUSED_PAD src0_sel:DWORD src1_sel:WORD_1
	;; [unrolled: 1-line block ×16, first 2 shown]
	v_fmac_f16_e32 v87, v46, v54
	v_fma_f16 v85, v66, v54, -v16
	v_fmac_f16_e32 v88, v48, v55
	v_fma_f16 v86, v73, v55, -v22
	;; [unrolled: 2-line block ×8, first 2 shown]
	v_mul_f16_sdwa v73, v99, v69 dst_sel:DWORD dst_unused:UNUSED_PAD src0_sel:DWORD src1_sel:WORD_1
	v_mul_f16_sdwa v16, v29, v69 dst_sel:DWORD dst_unused:UNUSED_PAD src0_sel:DWORD src1_sel:WORD_1
	;; [unrolled: 1-line block ×8, first 2 shown]
	v_fmac_f16_e32 v73, v29, v69
	v_fma_f16 v69, v99, v69, -v16
	v_mul_f16_sdwa v65, v100, v91 dst_sel:DWORD dst_unused:UNUSED_PAD src0_sel:DWORD src1_sel:WORD_1
	v_mul_f16_sdwa v41, v30, v91 dst_sel:DWORD dst_unused:UNUSED_PAD src0_sel:DWORD src1_sel:WORD_1
	;; [unrolled: 1-line block ×16, first 2 shown]
	v_fmac_f16_e32 v67, v37, v70
	v_fma_f16 v70, v101, v70, -v22
	v_fmac_f16_e32 v68, v39, v71
	v_fmac_f16_e32 v74, v40, v72
	;; [unrolled: 1-line block ×3, first 2 shown]
	v_fma_f16 v29, v100, v91, -v41
	v_fmac_f16_e32 v63, v31, v92
	v_fma_f16 v60, v102, v92, -v42
	v_fmac_f16_e32 v64, v32, v93
	;; [unrolled: 2-line block ×3, first 2 shown]
	v_fmac_f16_e32 v58, v38, v95
	v_fmac_f16_e32 v47, v34, v96
	;; [unrolled: 1-line block ×4, first 2 shown]
	v_add_f16_e32 v16, v28, v87
	v_add_f16_e32 v22, v88, v89
	v_sub_f16_e32 v30, v87, v88
	v_sub_f16_e32 v31, v90, v89
	v_add_f16_e32 v32, v87, v90
	v_sub_f16_e32 v33, v88, v87
	v_sub_f16_e32 v34, v89, v90
	v_add_f16_e32 v35, v26, v81
	v_add_f16_e32 v36, v79, v80
	v_sub_f16_e32 v39, v81, v79
	v_sub_f16_e32 v40, v82, v80
	v_add_f16_e32 v41, v81, v82
	v_sub_f16_e32 v42, v79, v81
	v_sub_f16_e32 v43, v80, v82
	v_fma_f16 v71, v103, v71, -v23
	v_fma_f16 v72, v105, v72, -v24
	;; [unrolled: 1-line block ×7, first 2 shown]
	v_sub_f16_e32 v23, v85, v83
	v_sub_f16_e32 v24, v86, v84
	;; [unrolled: 1-line block ×4, first 2 shown]
	v_add_f16_e32 v16, v16, v88
	v_fma_f16 v22, -0.5, v22, v28
	v_add_f16_e32 v30, v30, v31
	v_fmac_f16_e32 v28, -0.5, v32
	v_add_f16_e32 v31, v33, v34
	v_add_f16_e32 v32, v35, v79
	v_fma_f16 v33, -0.5, v36, v26
	v_add_f16_e32 v34, v39, v40
	v_fmac_f16_e32 v26, -0.5, v41
	v_add_f16_e32 v35, v42, v43
	v_add_f16_e32 v36, v25, v73
	;; [unrolled: 1-line block ×3, first 2 shown]
	v_sub_f16_e32 v42, v73, v67
	v_sub_f16_e32 v43, v74, v68
	v_add_f16_e32 v44, v73, v74
	v_sub_f16_e32 v45, v67, v73
	v_sub_f16_e32 v46, v68, v74
	v_add_f16_e32 v91, v21, v65
	v_add_f16_e32 v92, v63, v64
	v_sub_f16_e32 v95, v65, v63
	v_sub_f16_e32 v96, v66, v64
	v_add_f16_e32 v97, v65, v66
	v_sub_f16_e32 v98, v63, v65
	v_sub_f16_e32 v99, v64, v66
	v_add_f16_e32 v101, v47, v48
	v_add_f16_e32 v106, v58, v59
	v_sub_f16_e32 v40, v69, v72
	v_sub_f16_e32 v41, v70, v71
	;; [unrolled: 1-line block ×4, first 2 shown]
	v_add_f16_e32 v100, v27, v58
	v_sub_f16_e32 v103, v56, v57
	v_sub_f16_e32 v104, v58, v47
	;; [unrolled: 1-line block ×3, first 2 shown]
	v_add_f16_e32 v42, v42, v43
	v_fma_f16 v39, -0.5, v39, v25
	v_fmac_f16_e32 v25, -0.5, v44
	v_add_f16_e32 v43, v45, v46
	v_add_f16_e32 v44, v16, v89
	;; [unrolled: 1-line block ×3, first 2 shown]
	v_fmamk_f16 v46, v23, 0xbb9c, v22
	v_fmac_f16_e32 v22, 0x3b9c, v23
	v_fma_f16 v92, -0.5, v92, v21
	v_fmac_f16_e32 v21, -0.5, v97
	v_fmamk_f16 v95, v24, 0x3b9c, v28
	v_fmac_f16_e32 v28, 0xbb9c, v24
	v_add_f16_e32 v32, v32, v80
	v_add_f16_e32 v96, v98, v99
	v_fmamk_f16 v97, v37, 0xbb9c, v33
	v_fmac_f16_e32 v33, 0x3b9c, v37
	v_fmamk_f16 v99, v38, 0x3b9c, v26
	v_fmac_f16_e32 v26, 0xbb9c, v38
	v_add_f16_e32 v36, v36, v67
	v_add_f16_e32 v91, v91, v63
	v_fma_f16 v16, -0.5, v101, v27
	v_fmac_f16_e32 v27, -0.5, v106
	v_sub_f16_e32 v102, v55, v54
	v_sub_f16_e32 v107, v47, v58
	;; [unrolled: 1-line block ×3, first 2 shown]
	v_add_f16_e32 v98, v104, v105
	v_add_f16_e32 v100, v100, v47
	v_fmac_f16_e32 v46, 0xb8b4, v24
	v_fmac_f16_e32 v22, 0x38b4, v24
	;; [unrolled: 1-line block ×4, first 2 shown]
	v_add_f16_e32 v23, v32, v82
	v_fmac_f16_e32 v97, 0xb8b4, v38
	v_fmac_f16_e32 v33, 0x38b4, v38
	;; [unrolled: 1-line block ×4, first 2 shown]
	v_add_f16_e32 v24, v36, v68
	v_fmamk_f16 v32, v40, 0xbb9c, v39
	v_fmac_f16_e32 v39, 0x3b9c, v40
	v_fmamk_f16 v36, v41, 0x3b9c, v25
	v_fmac_f16_e32 v25, 0xbb9c, v41
	v_add_f16_e32 v37, v91, v64
	v_fmamk_f16 v38, v93, 0xbb9c, v92
	v_fmamk_f16 v91, v94, 0x3b9c, v21
	v_fmac_f16_e32 v21, 0xbb9c, v94
	v_fmamk_f16 v105, v103, 0x3b9c, v27
	v_fmac_f16_e32 v27, 0xbb9c, v103
	v_fmac_f16_e32 v92, 0x3b9c, v93
	v_fmamk_f16 v104, v102, 0xbb9c, v16
	v_fmac_f16_e32 v16, 0x3b9c, v102
	v_add_f16_e32 v101, v107, v108
	v_add_f16_e32 v100, v100, v48
	v_fmac_f16_e32 v32, 0xb8b4, v41
	v_fmac_f16_e32 v39, 0x38b4, v41
	;; [unrolled: 1-line block ×6, first 2 shown]
	v_add_f16_e32 v44, v44, v90
	v_fmac_f16_e32 v46, 0x34f2, v30
	v_fmac_f16_e32 v36, 0xb8b4, v40
	;; [unrolled: 1-line block ×12, first 2 shown]
	v_add_f16_e32 v24, v24, v74
	v_add_f16_e32 v30, v37, v66
	;; [unrolled: 1-line block ×3, first 2 shown]
	v_fmac_f16_e32 v32, 0x34f2, v42
	v_fmac_f16_e32 v39, 0x34f2, v42
	;; [unrolled: 1-line block ×8, first 2 shown]
	ds_write_b16 v53, v44
	v_fmac_f16_e32 v36, 0x34f2, v43
	v_fmac_f16_e32 v92, 0x34f2, v45
	;; [unrolled: 1-line block ×6, first 2 shown]
	ds_write_b16 v53, v46 offset:26
	ds_write_b16 v53, v95 offset:52
	ds_write_b16 v53, v28 offset:78
	ds_write_b16 v53, v22 offset:104
	ds_write_b16 v51, v23
	ds_write_b16 v51, v97 offset:26
	ds_write_b16 v51, v99 offset:52
	ds_write_b16 v51, v26 offset:78
	ds_write_b16 v51, v33 offset:104
	ds_write_b16 v52, v24
	;; [unrolled: 5-line block ×4, first 2 shown]
	ds_write_b16 v49, v104 offset:26
	ds_write_b16 v49, v105 offset:52
	ds_write_b16 v49, v27 offset:78
	ds_write_b16 v49, v16 offset:104
	s_waitcnt lgkmcnt(0)
	s_barrier
	buffer_gl0_inv
	ds_read_u16 v28, v9
	ds_read_u16 v24, v10 offset:78
	ds_read_u16 v25, v10 offset:156
	;; [unrolled: 1-line block ×23, first 2 shown]
                                        ; implicit-def: $vgpr36
	s_and_saveexec_b32 s1, s0
	s_cbranch_execz .LBB0_18
; %bb.17:
	ds_read_u16 v16, v10 offset:624
	ds_read_u16 v11, v10 offset:1274
	;; [unrolled: 1-line block ×3, first 2 shown]
.LBB0_18:
	s_or_b32 exec_lo, exec_lo, s1
	v_add_f16_e32 v92, v20, v85
	v_add_f16_e32 v91, v86, v84
	v_sub_f16_e32 v88, v88, v89
	v_sub_f16_e32 v89, v85, v86
	v_add_f16_e32 v93, v85, v83
	v_sub_f16_e32 v85, v86, v85
	v_add_f16_e32 v86, v92, v86
	v_sub_f16_e32 v87, v87, v90
	v_fma_f16 v90, -0.5, v91, v20
	v_sub_f16_e32 v91, v83, v84
	v_sub_f16_e32 v94, v84, v83
	v_add_f16_e32 v84, v86, v84
	v_fmac_f16_e32 v20, -0.5, v93
	v_fmamk_f16 v92, v87, 0x3b9c, v90
	v_fmac_f16_e32 v90, 0xbb9c, v87
	v_add_f16_e32 v89, v89, v91
	v_add_f16_e32 v83, v84, v83
	;; [unrolled: 1-line block ×4, first 2 shown]
	v_fmac_f16_e32 v92, 0x38b4, v88
	v_fmac_f16_e32 v90, 0xb8b4, v88
	v_sub_f16_e32 v81, v81, v82
	v_fmamk_f16 v86, v88, 0xbb9c, v20
	v_add_f16_e32 v82, v85, v76
	v_add_f16_e32 v91, v76, v77
	v_fmac_f16_e32 v92, 0x34f2, v89
	v_fmac_f16_e32 v90, 0x34f2, v89
	v_fmac_f16_e32 v20, 0x3b9c, v88
	v_add_f16_e32 v89, v75, v78
	v_add_f16_e32 v82, v82, v77
	v_fmac_f16_e32 v86, 0x38b4, v87
	v_fma_f16 v91, -0.5, v91, v18
	v_sub_f16_e32 v79, v79, v80
	v_sub_f16_e32 v80, v75, v76
	;; [unrolled: 1-line block ×3, first 2 shown]
	v_fmac_f16_e32 v20, 0xb8b4, v87
	v_fmac_f16_e32 v18, -0.5, v89
	v_add_f16_e32 v82, v82, v78
	v_sub_f16_e32 v75, v76, v75
	v_sub_f16_e32 v76, v77, v78
	v_add_f16_e32 v77, v17, v69
	v_add_f16_e32 v78, v70, v71
	v_fmac_f16_e32 v86, 0x34f2, v84
	v_fmac_f16_e32 v20, 0x34f2, v84
	v_fmamk_f16 v84, v79, 0xbb9c, v18
	v_add_f16_e32 v75, v75, v76
	v_fmac_f16_e32 v18, 0x3b9c, v79
	v_add_f16_e32 v76, v77, v70
	v_fma_f16 v77, -0.5, v78, v17
	v_sub_f16_e32 v73, v73, v74
	v_add_f16_e32 v78, v69, v72
	v_fmamk_f16 v85, v81, 0x3b9c, v91
	v_fmac_f16_e32 v91, 0xbb9c, v81
	v_fmac_f16_e32 v84, 0x38b4, v81
	v_fmac_f16_e32 v18, 0xb8b4, v81
	v_add_f16_e32 v74, v76, v71
	v_fmamk_f16 v76, v73, 0x3b9c, v77
	v_sub_f16_e32 v67, v67, v68
	v_fmac_f16_e32 v17, -0.5, v78
	v_fmac_f16_e32 v77, 0xbb9c, v73
	v_fmac_f16_e32 v85, 0x38b4, v79
	v_fmac_f16_e32 v91, 0xb8b4, v79
	v_fmac_f16_e32 v84, 0x34f2, v75
	v_sub_f16_e32 v68, v69, v70
	v_sub_f16_e32 v79, v72, v71
	v_fmac_f16_e32 v18, 0x34f2, v75
	v_fmac_f16_e32 v76, 0x38b4, v67
	v_fmamk_f16 v75, v67, 0xbb9c, v17
	v_sub_f16_e32 v69, v70, v69
	v_sub_f16_e32 v70, v71, v72
	v_fmac_f16_e32 v77, 0xb8b4, v67
	v_add_f16_e32 v71, v60, v61
	v_fmac_f16_e32 v17, 0x3b9c, v67
	v_add_f16_e32 v67, v3, v29
	v_add_f16_e32 v68, v68, v79
	;; [unrolled: 1-line block ×3, first 2 shown]
	v_fma_f16 v70, -0.5, v71, v3
	v_sub_f16_e32 v65, v65, v66
	v_add_f16_e32 v66, v67, v60
	v_fmac_f16_e32 v76, 0x34f2, v68
	v_fmac_f16_e32 v77, 0x34f2, v68
	v_sub_f16_e32 v63, v63, v64
	v_fmamk_f16 v67, v65, 0x3b9c, v70
	v_sub_f16_e32 v64, v29, v60
	v_sub_f16_e32 v68, v62, v61
	v_fmac_f16_e32 v70, 0xbb9c, v65
	v_add_f16_e32 v71, v29, v62
	v_add_f16_e32 v66, v66, v61
	v_fmac_f16_e32 v67, 0x38b4, v63
	v_add_f16_e32 v64, v64, v68
	v_fmac_f16_e32 v70, 0xb8b4, v63
	v_fmac_f16_e32 v3, -0.5, v71
	v_add_f16_e32 v66, v66, v62
	v_sub_f16_e32 v60, v60, v29
	v_sub_f16_e32 v61, v61, v62
	v_add_f16_e32 v62, v19, v55
	v_fmac_f16_e32 v67, 0x34f2, v64
	v_fmac_f16_e32 v70, 0x34f2, v64
	v_fmamk_f16 v64, v63, 0xbb9c, v3
	v_add_f16_e32 v68, v56, v57
	v_fmac_f16_e32 v3, 0x3b9c, v63
	v_sub_f16_e32 v58, v58, v59
	v_add_f16_e32 v59, v60, v61
	v_add_f16_e32 v60, v62, v56
	;; [unrolled: 1-line block ×3, first 2 shown]
	v_fma_f16 v29, -0.5, v68, v19
	v_fmac_f16_e32 v64, 0x38b4, v65
	v_fmac_f16_e32 v3, 0xb8b4, v65
	v_sub_f16_e32 v47, v47, v48
	v_fmac_f16_e32 v19, -0.5, v62
	v_fmamk_f16 v61, v58, 0x3b9c, v29
	v_fmac_f16_e32 v64, 0x34f2, v59
	v_fmac_f16_e32 v3, 0x34f2, v59
	v_add_f16_e32 v48, v60, v57
	v_sub_f16_e32 v59, v55, v56
	v_sub_f16_e32 v60, v54, v57
	v_fmac_f16_e32 v29, 0xbb9c, v58
	v_fmamk_f16 v62, v47, 0xbb9c, v19
	v_sub_f16_e32 v55, v56, v55
	v_sub_f16_e32 v56, v57, v54
	v_fmac_f16_e32 v19, 0x3b9c, v47
	v_fmac_f16_e32 v17, 0xb8b4, v73
	;; [unrolled: 1-line block ×3, first 2 shown]
	v_add_f16_e32 v57, v59, v60
	v_fmac_f16_e32 v29, 0xb8b4, v47
	v_fmac_f16_e32 v62, 0x38b4, v58
	v_add_f16_e32 v47, v55, v56
	v_fmac_f16_e32 v19, 0xb8b4, v58
	v_add_f16_e32 v80, v80, v88
	v_fmac_f16_e32 v75, 0x38b4, v73
	v_fmac_f16_e32 v17, 0x34f2, v69
	v_add_f16_e32 v48, v48, v54
	v_fmac_f16_e32 v61, 0x34f2, v57
	v_fmac_f16_e32 v62, 0x34f2, v47
	;; [unrolled: 1-line block ×5, first 2 shown]
	v_add_f16_e32 v74, v74, v72
	v_fmac_f16_e32 v75, 0x34f2, v69
	v_fmac_f16_e32 v29, 0x34f2, v57
	s_waitcnt lgkmcnt(0)
	s_barrier
	buffer_gl0_inv
	ds_write_b16 v53, v83
	ds_write_b16 v53, v92 offset:26
	ds_write_b16 v53, v86 offset:52
	ds_write_b16 v53, v20 offset:78
	ds_write_b16 v53, v90 offset:104
	ds_write_b16 v51, v82
	ds_write_b16 v51, v85 offset:26
	ds_write_b16 v51, v84 offset:52
	ds_write_b16 v51, v18 offset:78
	ds_write_b16 v51, v91 offset:104
	;; [unrolled: 5-line block ×5, first 2 shown]
	s_waitcnt lgkmcnt(0)
	s_barrier
	buffer_gl0_inv
	ds_read_u16 v17, v9
	ds_read_u16 v18, v10 offset:78
	ds_read_u16 v47, v10 offset:156
	;; [unrolled: 1-line block ×23, first 2 shown]
                                        ; implicit-def: $vgpr58
	s_and_saveexec_b32 s1, s0
	s_cbranch_execz .LBB0_20
; %bb.19:
	ds_read_u16 v29, v10 offset:624
	ds_read_u16 v13, v10 offset:1274
	;; [unrolled: 1-line block ×3, first 2 shown]
.LBB0_20:
	s_or_b32 exec_lo, exec_lo, s1
	v_subrev_nc_u32_e32 v53, 26, v4
	v_mul_lo_u16 v15, 0xfd, v15
	v_cmp_gt_u32_e64 s1, 26, v4
	v_mov_b32_e32 v3, 0
	v_mul_lo_u16 v72, 0xfd, v14
	v_add_nc_u32_e32 v73, 0x138, v4
	v_lshrrev_b16 v71, 14, v15
	v_cndmask_b32_e64 v53, v53, v5, s1
	v_lshlrev_b64 v[69:70], 2, v[2:3]
	v_mov_b32_e32 v75, 3
	v_mov_b32_e32 v78, 0xfc1
	;; [unrolled: 1-line block ×3, first 2 shown]
	v_lshlrev_b32_e32 v14, 1, v53
	v_mul_lo_u16 v53, 0x41, v71
	v_add_co_u32 v69, s1, s8, v69
	v_add_co_ci_u32_e64 v70, s1, s9, v70, s1
	v_sub_nc_u16 v79, v6, v53
	v_mul_u32_u24_sdwa v71, v73, v78 dst_sel:DWORD dst_unused:UNUSED_PAD src0_sel:WORD_0 src1_sel:DWORD
	v_add_nc_u32_e32 v2, 26, v2
	global_load_dwordx2 v[76:77], v[69:70], off offset:208
	v_lshrrev_b16 v74, 14, v72
	v_lshlrev_b32_sdwa v53, v75, v79 dst_sel:DWORD dst_unused:UNUSED_PAD src0_sel:DWORD src1_sel:BYTE_0
	v_lshlrev_b64 v[2:3], 2, v[2:3]
	global_load_dwordx2 v[85:86], v53, s[8:9] offset:208
	v_lshlrev_b64 v[69:70], 2, v[14:15]
	v_lshrrev_b32_e32 v53, 18, v71
	v_mul_lo_u16 v15, 0x41, v74
	v_and_b32_e32 v74, 0xffff, v74
	v_mul_lo_u16 v53, 0x41, v53
	v_add_co_u32 v69, s1, s8, v69
	v_add_co_ci_u32_e64 v70, s1, s9, v70, s1
	v_add_co_u32 v71, s1, s8, v2
	v_sub_nc_u16 v15, v7, v15
	v_sub_nc_u16 v53, v73, v53
	v_add_co_ci_u32_e64 v72, s1, s9, v3, s1
	v_add_nc_u32_e32 v3, 0xc3, v4
	global_load_dwordx2 v[87:88], v[69:70], off offset:208
	v_lshlrev_b32_sdwa v2, v75, v15 dst_sel:DWORD dst_unused:UNUSED_PAD src0_sel:DWORD src1_sel:BYTE_0
	v_lshlrev_b32_sdwa v70, v75, v53 dst_sel:DWORD dst_unused:UNUSED_PAD src0_sel:DWORD src1_sel:WORD_0
	global_load_dwordx2 v[89:90], v[71:72], off offset:208
	v_and_b32_e32 v69, 0xff, v3
	v_cmp_lt_u32_e64 s1, 25, v4
	s_clause 0x1
	global_load_dwordx2 v[91:92], v2, s[8:9] offset:208
	global_load_dwordx2 v[93:94], v70, s[8:9] offset:208
	v_add_nc_u32_e32 v2, 0xea, v4
	v_mul_lo_u16 v69, 0xfd, v69
	v_add_nc_u32_e32 v71, 0x111, v4
	v_mul_u32_u24_sdwa v72, v2, v78 dst_sel:DWORD dst_unused:UNUSED_PAD src0_sel:WORD_0 src1_sel:DWORD
	v_lshrrev_b16 v69, 14, v69
	v_mul_u32_u24_sdwa v70, v71, v78 dst_sel:DWORD dst_unused:UNUSED_PAD src0_sel:WORD_0 src1_sel:DWORD
	v_mov_b32_e32 v78, 1
	v_lshrrev_b32_e32 v72, 18, v72
	v_mul_lo_u16 v69, 0x41, v69
	v_lshrrev_b32_e32 v70, 18, v70
	v_lshlrev_b32_sdwa v15, v78, v15 dst_sel:DWORD dst_unused:UNUSED_PAD src0_sel:DWORD src1_sel:BYTE_0
	v_mul_lo_u16 v73, 0x41, v72
	v_sub_nc_u16 v80, v3, v69
	v_mul_lo_u16 v69, 0x41, v70
	v_mad_u32_u24 v72, 0x186, v72, 0
	v_sub_nc_u16 v73, v2, v73
	v_lshlrev_b32_sdwa v70, v75, v80 dst_sel:DWORD dst_unused:UNUSED_PAD src0_sel:DWORD src1_sel:BYTE_0
	v_sub_nc_u16 v71, v71, v69
	v_lshlrev_b32_sdwa v69, v75, v73 dst_sel:DWORD dst_unused:UNUSED_PAD src0_sel:DWORD src1_sel:WORD_0
	global_load_dwordx2 v[95:96], v70, s[8:9] offset:208
	v_lshlrev_b32_sdwa v70, v75, v71 dst_sel:DWORD dst_unused:UNUSED_PAD src0_sel:DWORD src1_sel:WORD_0
	s_clause 0x1
	global_load_dwordx2 v[97:98], v69, s[8:9] offset:208
	global_load_dwordx2 v[99:100], v70, s[8:9] offset:208
	v_cndmask_b32_e64 v69, 0, 0x186, s1
	v_lshlrev_b32_sdwa v75, v78, v79 dst_sel:DWORD dst_unused:UNUSED_PAD src0_sel:DWORD src1_sel:BYTE_0
	v_lshlrev_b32_sdwa v79, v78, v73 dst_sel:DWORD dst_unused:UNUSED_PAD src0_sel:DWORD src1_sel:WORD_0
	v_lshlrev_b32_sdwa v81, v78, v71 dst_sel:DWORD dst_unused:UNUSED_PAD src0_sel:DWORD src1_sel:WORD_0
	s_waitcnt vmcnt(0) lgkmcnt(0)
	v_add_nc_u32_e32 v70, 0, v69
	v_add3_u32 v73, 0, v75, v12
	v_add3_u32 v71, v72, v79, v12
	;; [unrolled: 1-line block ×3, first 2 shown]
	v_add_nc_u32_e32 v69, 26, v10
	v_add3_u32 v70, v70, v14, v12
	v_mad_u32_u24 v14, 0x186, v74, 0
	s_barrier
	buffer_gl0_inv
	v_add3_u32 v74, v14, v15, v12
	v_lshlrev_b32_sdwa v14, v78, v80 dst_sel:DWORD dst_unused:UNUSED_PAD src0_sel:DWORD src1_sel:BYTE_0
	v_add3_u32 v75, 0, v14, v12
	v_mul_f16_sdwa v80, v67, v76 dst_sel:DWORD dst_unused:UNUSED_PAD src0_sel:DWORD src1_sel:WORD_1
	v_mul_f16_sdwa v15, v45, v76 dst_sel:DWORD dst_unused:UNUSED_PAD src0_sel:DWORD src1_sel:WORD_1
	;; [unrolled: 1-line block ×4, first 2 shown]
	v_fmac_f16_e32 v80, v45, v76
	v_fma_f16 v84, v67, v76, -v15
	v_mul_f16_sdwa v45, v43, v85 dst_sel:DWORD dst_unused:UNUSED_PAD src0_sel:DWORD src1_sel:WORD_1
	v_mul_f16_sdwa v101, v44, v86 dst_sel:DWORD dst_unused:UNUSED_PAD src0_sel:DWORD src1_sel:WORD_1
	v_fmac_f16_e32 v81, v46, v77
	v_fma_f16 v79, v68, v77, -v79
	v_mul_f16_sdwa v14, v65, v85 dst_sel:DWORD dst_unused:UNUSED_PAD src0_sel:DWORD src1_sel:WORD_1
	v_mul_f16_sdwa v15, v66, v86 dst_sel:DWORD dst_unused:UNUSED_PAD src0_sel:DWORD src1_sel:WORD_1
	v_fma_f16 v46, v65, v85, -v45
	v_fma_f16 v45, v66, v86, -v101
	v_add_f16_e32 v109, v80, v81
	v_fmac_f16_e32 v14, v43, v85
	v_fmac_f16_e32 v15, v44, v86
	v_add_f16_e32 v108, v28, v80
	v_sub_f16_e32 v110, v84, v79
	v_fmac_f16_e32 v28, -0.5, v109
	v_mul_f16_sdwa v82, v61, v87 dst_sel:DWORD dst_unused:UNUSED_PAD src0_sel:DWORD src1_sel:WORD_1
	v_mul_f16_sdwa v83, v64, v88 dst_sel:DWORD dst_unused:UNUSED_PAD src0_sel:DWORD src1_sel:WORD_1
	;; [unrolled: 1-line block ×10, first 2 shown]
	v_fmac_f16_e32 v82, v39, v87
	v_fmac_f16_e32 v83, v42, v88
	v_fma_f16 v66, v64, v88, -v103
	v_fma_f16 v65, v60, v89, -v104
	v_fma_f16 v64, v59, v91, -v106
	v_mul_f16_sdwa v105, v41, v90 dst_sel:DWORD dst_unused:UNUSED_PAD src0_sel:DWORD src1_sel:WORD_1
	v_fmac_f16_e32 v68, v38, v89
	v_fmac_f16_e32 v77, v41, v90
	;; [unrolled: 1-line block ×3, first 2 shown]
	v_mul_f16_sdwa v107, v40, v92 dst_sel:DWORD dst_unused:UNUSED_PAD src0_sel:DWORD src1_sel:WORD_1
	v_mul_f16_sdwa v86, v11, v93 dst_sel:DWORD dst_unused:UNUSED_PAD src0_sel:DWORD src1_sel:WORD_1
	v_mul_f16_sdwa v101, v36, v94 dst_sel:DWORD dst_unused:UNUSED_PAD src0_sel:DWORD src1_sel:WORD_1
	v_fmac_f16_e32 v76, v40, v92
	v_mul_f16_sdwa v44, v58, v94 dst_sel:DWORD dst_unused:UNUSED_PAD src0_sel:DWORD src1_sel:WORD_1
	v_fma_f16 v85, v61, v87, -v102
	v_add_f16_e32 v102, v82, v83
	v_mul_f16_sdwa v43, v13, v93 dst_sel:DWORD dst_unused:UNUSED_PAD src0_sel:DWORD src1_sel:WORD_1
	v_fma_f16 v63, v63, v90, -v105
	v_add_f16_e32 v105, v68, v77
	v_fma_f16 v61, v62, v92, -v107
	v_fma_f16 v42, v13, v93, -v86
	;; [unrolled: 1-line block ×3, first 2 shown]
	v_add_f16_e32 v86, v14, v15
	v_add_f16_e32 v101, v24, v82
	v_mul_f16_sdwa v59, v54, v95 dst_sel:DWORD dst_unused:UNUSED_PAD src0_sel:DWORD src1_sel:WORD_1
	v_mul_f16_sdwa v60, v57, v96 dst_sel:DWORD dst_unused:UNUSED_PAD src0_sel:DWORD src1_sel:WORD_1
	;; [unrolled: 1-line block ×8, first 2 shown]
	v_fmac_f16_e32 v59, v32, v95
	v_fmac_f16_e32 v60, v35, v96
	v_mul_f16_sdwa v89, v31, v97 dst_sel:DWORD dst_unused:UNUSED_PAD src0_sel:DWORD src1_sel:WORD_1
	v_mul_f16_sdwa v90, v34, v98 dst_sel:DWORD dst_unused:UNUSED_PAD src0_sel:DWORD src1_sel:WORD_1
	v_fmac_f16_e32 v37, v31, v97
	v_fmac_f16_e32 v39, v34, v98
	v_mul_f16_sdwa v91, v30, v99 dst_sel:DWORD dst_unused:UNUSED_PAD src0_sel:DWORD src1_sel:WORD_1
	v_mul_f16_sdwa v92, v33, v100 dst_sel:DWORD dst_unused:UNUSED_PAD src0_sel:DWORD src1_sel:WORD_1
	v_fmac_f16_e32 v38, v30, v99
	v_fmac_f16_e32 v40, v33, v100
	v_add_f16_e32 v62, v108, v81
	v_fmac_f16_e32 v44, v36, v94
	v_sub_f16_e32 v103, v85, v66
	v_add_f16_e32 v108, v67, v76
	v_fma_f16 v36, v54, v95, -v87
	v_fma_f16 v32, v57, v96, -v88
	v_fmac_f16_e32 v24, -0.5, v102
	v_add_f16_e32 v54, v59, v60
	v_add_f16_e32 v104, v25, v68
	v_fmac_f16_e32 v43, v11, v93
	v_add_f16_e32 v58, v27, v14
	v_sub_f16_e32 v106, v65, v63
	v_fma_f16 v20, v20, v97, -v89
	v_fma_f16 v11, v56, v98, -v90
	v_fmac_f16_e32 v25, -0.5, v105
	v_add_f16_e32 v57, v37, v39
	v_fmamk_f16 v94, v110, 0xbaee, v28
	v_fma_f16 v19, v19, v99, -v91
	v_fma_f16 v13, v55, v100, -v92
	v_fmac_f16_e32 v27, -0.5, v86
	v_add_f16_e32 v31, v101, v83
	v_add_f16_e32 v35, v21, v59
	;; [unrolled: 1-line block ×3, first 2 shown]
	v_sub_f16_e32 v93, v46, v45
	v_fmac_f16_e32 v28, 0x3aee, v110
	v_add_f16_e32 v107, v26, v67
	v_sub_f16_e32 v109, v64, v61
	v_fmac_f16_e32 v26, -0.5, v108
	v_sub_f16_e32 v55, v36, v32
	v_fmamk_f16 v88, v103, 0xbaee, v24
	v_fmac_f16_e32 v21, -0.5, v54
	v_fmac_f16_e32 v24, 0x3aee, v103
	v_add_f16_e32 v33, v104, v77
	v_add_f16_e32 v56, v22, v37
	;; [unrolled: 1-line block ×3, first 2 shown]
	v_sub_f16_e32 v58, v20, v11
	v_fmamk_f16 v89, v106, 0xbaee, v25
	v_fmac_f16_e32 v22, -0.5, v57
	ds_write_b16 v10, v62
	ds_write_b16 v10, v94 offset:130
	ds_write_b16 v10, v28 offset:260
	v_add_f16_e32 v62, v23, v38
	v_sub_f16_e32 v87, v19, v13
	v_fmac_f16_e32 v25, 0x3aee, v106
	ds_write_b16 v70, v31
	v_add_f16_e32 v31, v35, v60
	v_fmac_f16_e32 v23, -0.5, v86
	v_add_f16_e32 v34, v107, v76
	v_fmamk_f16 v28, v93, 0xbaee, v27
	v_fmac_f16_e32 v27, 0x3aee, v93
	v_fmamk_f16 v90, v109, 0xbaee, v26
	v_fmac_f16_e32 v26, 0x3aee, v109
	ds_write_b16 v70, v88 offset:130
	ds_write_b16 v70, v24 offset:260
	;; [unrolled: 1-line block ×5, first 2 shown]
	ds_write_b16 v74, v34
	ds_write_b16 v74, v90 offset:130
	ds_write_b16 v74, v26 offset:260
	;; [unrolled: 1-line block ×5, first 2 shown]
	v_fmamk_f16 v24, v55, 0xbaee, v21
	v_fmac_f16_e32 v21, 0x3aee, v55
	v_add_f16_e32 v35, v56, v39
	v_fmamk_f16 v25, v58, 0xbaee, v22
	v_add_f16_e32 v54, v62, v40
	v_fmac_f16_e32 v22, 0x3aee, v58
	v_fmamk_f16 v26, v87, 0xbaee, v23
	v_fmac_f16_e32 v23, 0x3aee, v87
	ds_write_b16 v75, v31 offset:1170
	ds_write_b16 v75, v24 offset:1300
	;; [unrolled: 1-line block ×3, first 2 shown]
	ds_write_b16 v71, v35
	ds_write_b16 v71, v25 offset:130
	ds_write_b16 v71, v22 offset:260
	;; [unrolled: 1-line block ×5, first 2 shown]
	s_and_saveexec_b32 s1, s0
	s_cbranch_execz .LBB0_22
; %bb.21:
	v_add_f16_e32 v21, v43, v44
	v_lshlrev_b32_sdwa v22, v78, v53 dst_sel:DWORD dst_unused:UNUSED_PAD src0_sel:DWORD src1_sel:WORD_0
	v_add_f16_e32 v24, v16, v43
	v_sub_f16_e32 v23, v42, v41
	v_fma_f16 v16, -0.5, v21, v16
	v_add3_u32 v21, 0, v22, v12
	v_add_f16_e32 v22, v24, v44
	v_fmamk_f16 v24, v23, 0x3aee, v16
	v_fmac_f16_e32 v16, 0xbaee, v23
	ds_write_b16 v21, v22 offset:1560
	ds_write_b16 v21, v16 offset:1690
	;; [unrolled: 1-line block ×3, first 2 shown]
.LBB0_22:
	s_or_b32 exec_lo, exec_lo, s1
	v_add_f16_e32 v16, v84, v79
	v_add_f16_e32 v21, v17, v84
	v_sub_f16_e32 v22, v80, v81
	v_sub_f16_e32 v14, v14, v15
	v_add_f16_e32 v15, v50, v36
	v_fmac_f16_e32 v17, -0.5, v16
	v_add_f16_e32 v16, v18, v85
	v_add_f16_e32 v34, v21, v79
	;; [unrolled: 1-line block ×4, first 2 shown]
	v_fmamk_f16 v54, v22, 0x3aee, v17
	v_add_f16_e32 v55, v16, v66
	v_add_f16_e32 v16, v65, v63
	v_fmac_f16_e32 v17, 0xbaee, v22
	v_add_f16_e32 v22, v64, v61
	v_add_f16_e32 v57, v21, v63
	;; [unrolled: 1-line block ×3, first 2 shown]
	v_fmac_f16_e32 v47, -0.5, v16
	v_sub_f16_e32 v16, v68, v77
	v_fmac_f16_e32 v48, -0.5, v22
	v_sub_f16_e32 v22, v67, v76
	v_add_f16_e32 v61, v21, v61
	v_add_f16_e32 v21, v49, v46
	v_fmamk_f16 v58, v16, 0x3aee, v47
	v_fmac_f16_e32 v47, 0xbaee, v16
	v_add_f16_e32 v16, v46, v45
	v_fmamk_f16 v62, v22, 0x3aee, v48
	v_fmac_f16_e32 v48, 0xbaee, v22
	v_add_f16_e32 v22, v36, v32
	v_sub_f16_e32 v24, v82, v83
	v_fmac_f16_e32 v49, -0.5, v16
	v_sub_f16_e32 v16, v59, v60
	v_add_f16_e32 v59, v15, v32
	v_fmac_f16_e32 v50, -0.5, v22
	v_add_f16_e32 v15, v19, v13
	v_fmamk_f16 v46, v14, 0x3aee, v49
	v_fmac_f16_e32 v49, 0xbaee, v14
	v_add_f16_e32 v14, v20, v11
	v_fmac_f16_e32 v18, -0.5, v23
	v_fmamk_f16 v60, v16, 0x3aee, v50
	v_fmac_f16_e32 v50, 0xbaee, v16
	v_add_f16_e32 v16, v51, v20
	v_fmac_f16_e32 v51, -0.5, v14
	v_sub_f16_e32 v14, v37, v39
	v_add_f16_e32 v19, v52, v19
	v_fmac_f16_e32 v52, -0.5, v15
	v_sub_f16_e32 v15, v38, v40
	v_fmamk_f16 v56, v24, 0x3aee, v18
	v_fmac_f16_e32 v18, 0xbaee, v24
	v_add_f16_e32 v45, v21, v45
	v_add_f16_e32 v63, v16, v11
	v_fmamk_f16 v64, v14, 0x3aee, v51
	v_fmac_f16_e32 v51, 0xbaee, v14
	v_add_f16_e32 v65, v19, v13
	v_fmamk_f16 v66, v15, 0x3aee, v52
	v_fmac_f16_e32 v52, 0xbaee, v15
	s_waitcnt lgkmcnt(0)
	s_barrier
	buffer_gl0_inv
	ds_read_u16 v24, v10 offset:468
	ds_read_u16 v15, v10 offset:546
	ds_read_u16 v13, v9
	ds_read_u16 v11, v10 offset:78
	ds_read_u16 v23, v10 offset:156
	;; [unrolled: 1-line block ×22, first 2 shown]
	s_waitcnt lgkmcnt(0)
	s_barrier
	buffer_gl0_inv
	ds_write_b16 v10, v34
	ds_write_b16 v10, v54 offset:130
	ds_write_b16 v10, v17 offset:260
	ds_write_b16 v70, v55
	ds_write_b16 v70, v56 offset:130
	ds_write_b16 v70, v18 offset:260
	;; [unrolled: 1-line block ×5, first 2 shown]
	ds_write_b16 v74, v61
	ds_write_b16 v74, v62 offset:130
	ds_write_b16 v74, v48 offset:260
	;; [unrolled: 1-line block ×8, first 2 shown]
	ds_write_b16 v71, v63
	ds_write_b16 v71, v64 offset:130
	ds_write_b16 v71, v51 offset:260
	;; [unrolled: 1-line block ×5, first 2 shown]
	s_and_saveexec_b32 s1, s0
	s_cbranch_execz .LBB0_24
; %bb.23:
	v_mov_b32_e32 v17, 1
	v_add_f16_e32 v18, v42, v41
	v_add_f16_e32 v34, v29, v42
	v_sub_f16_e32 v42, v43, v44
	v_lshlrev_b32_sdwa v17, v17, v53 dst_sel:DWORD dst_unused:UNUSED_PAD src0_sel:DWORD src1_sel:WORD_0
	v_fmac_f16_e32 v29, -0.5, v18
	v_add_f16_e32 v18, v34, v41
	v_add3_u32 v12, 0, v17, v12
	v_fmamk_f16 v17, v42, 0x3aee, v29
	v_fmamk_f16 v29, v42, 0xbaee, v29
	ds_write_b16 v12, v18 offset:1560
	ds_write_b16 v12, v17 offset:1690
	;; [unrolled: 1-line block ×3, first 2 shown]
.LBB0_24:
	s_or_b32 exec_lo, exec_lo, s1
	s_waitcnt lgkmcnt(0)
	s_barrier
	buffer_gl0_inv
	s_and_saveexec_b32 s0, vcc_lo
	s_cbranch_execz .LBB0_26
; %bb.25:
	v_lshlrev_b32_e32 v17, 2, v6
	v_mov_b32_e32 v18, 0
	v_lshlrev_b64 v[41:42], 2, v[17:18]
	v_lshlrev_b32_e32 v17, 2, v7
	v_lshlrev_b64 v[45:46], 2, v[17:18]
	v_lshlrev_b32_e32 v17, 2, v8
	v_add_co_u32 v41, vcc_lo, s8, v41
	v_add_co_ci_u32_e32 v42, vcc_lo, s9, v42, vcc_lo
	v_lshlrev_b64 v[49:50], 2, v[17:18]
	v_lshlrev_b32_e32 v17, 2, v5
	v_add_co_u32 v45, vcc_lo, s8, v45
	global_load_dwordx4 v[41:44], v[41:42], off offset:728
	v_add_co_ci_u32_e32 v46, vcc_lo, s9, v46, vcc_lo
	v_lshlrev_b64 v[53:54], 2, v[17:18]
	v_add_co_u32 v49, vcc_lo, s8, v49
	v_lshlrev_b32_e32 v17, 2, v4
	global_load_dwordx4 v[45:48], v[45:46], off offset:728
	v_add_co_ci_u32_e32 v50, vcc_lo, s9, v50, vcc_lo
	v_add_co_u32 v53, vcc_lo, s8, v53
	v_lshlrev_b64 v[17:18], 2, v[17:18]
	global_load_dwordx4 v[49:52], v[49:50], off offset:728
	v_add_co_ci_u32_e32 v54, vcc_lo, s9, v54, vcc_lo
	v_add_co_u32 v17, vcc_lo, s8, v17
	global_load_dwordx4 v[53:56], v[53:54], off offset:728
	v_add_co_ci_u32_e32 v18, vcc_lo, s9, v18, vcc_lo
	global_load_dwordx4 v[57:60], v[17:18], off offset:728
	ds_read_u16 v12, v10 offset:1482
	ds_read_u16 v17, v10 offset:1872
	;; [unrolled: 1-line block ×24, first 2 shown]
	ds_read_u16 v80, v9
	s_waitcnt vmcnt(4)
	v_mul_f16_sdwa v9, v38, v42 dst_sel:DWORD dst_unused:UNUSED_PAD src0_sel:DWORD src1_sel:WORD_1
	v_mul_f16_sdwa v10, v37, v41 dst_sel:DWORD dst_unused:UNUSED_PAD src0_sel:DWORD src1_sel:WORD_1
	v_mul_f16_sdwa v81, v40, v43 dst_sel:DWORD dst_unused:UNUSED_PAD src0_sel:DWORD src1_sel:WORD_1
	v_mul_f16_sdwa v82, v39, v44 dst_sel:DWORD dst_unused:UNUSED_PAD src0_sel:DWORD src1_sel:WORD_1
	s_waitcnt lgkmcnt(21)
	v_mul_f16_sdwa v83, v18, v42 dst_sel:DWORD dst_unused:UNUSED_PAD src0_sel:DWORD src1_sel:WORD_1
	v_mul_f16_sdwa v84, v12, v43 dst_sel:DWORD dst_unused:UNUSED_PAD src0_sel:DWORD src1_sel:WORD_1
	s_waitcnt lgkmcnt(16)
	v_mul_f16_sdwa v85, v65, v41 dst_sel:DWORD dst_unused:UNUSED_PAD src0_sel:DWORD src1_sel:WORD_1
	v_mul_f16_sdwa v86, v17, v44 dst_sel:DWORD dst_unused:UNUSED_PAD src0_sel:DWORD src1_sel:WORD_1
	v_fma_f16 v18, v18, v42, -v9
	v_fma_f16 v9, v65, v41, -v10
	;; [unrolled: 1-line block ×4, first 2 shown]
	v_fmac_f16_e32 v83, v38, v42
	v_fmac_f16_e32 v84, v40, v43
	;; [unrolled: 1-line block ×4, first 2 shown]
	s_waitcnt vmcnt(3)
	v_mul_f16_sdwa v10, v32, v45 dst_sel:DWORD dst_unused:UNUSED_PAD src0_sel:DWORD src1_sel:WORD_1
	v_mul_f16_sdwa v12, v33, v46 dst_sel:DWORD dst_unused:UNUSED_PAD src0_sel:DWORD src1_sel:WORD_1
	;; [unrolled: 1-line block ×4, first 2 shown]
	s_waitcnt lgkmcnt(15)
	v_mul_f16_sdwa v38, v66, v45 dst_sel:DWORD dst_unused:UNUSED_PAD src0_sel:DWORD src1_sel:WORD_1
	s_waitcnt lgkmcnt(14)
	v_mul_f16_sdwa v39, v67, v48 dst_sel:DWORD dst_unused:UNUSED_PAD src0_sel:DWORD src1_sel:WORD_1
	v_mul_f16_sdwa v40, v29, v46 dst_sel:DWORD dst_unused:UNUSED_PAD src0_sel:DWORD src1_sel:WORD_1
	s_waitcnt lgkmcnt(10)
	v_mul_f16_sdwa v41, v71, v47 dst_sel:DWORD dst_unused:UNUSED_PAD src0_sel:DWORD src1_sel:WORD_1
	v_sub_f16_e32 v42, v18, v9
	v_sub_f16_e32 v43, v65, v81
	v_add_f16_e32 v82, v9, v81
	v_sub_f16_e32 v87, v85, v86
	v_sub_f16_e32 v88, v9, v18
	;; [unrolled: 1-line block ×3, first 2 shown]
	v_add_f16_e32 v90, v18, v65
	s_waitcnt lgkmcnt(4)
	v_add_f16_e32 v91, v9, v77
	v_sub_f16_e32 v92, v83, v85
	v_sub_f16_e32 v93, v84, v86
	v_add_f16_e32 v95, v85, v86
	v_sub_f16_e32 v97, v85, v83
	v_sub_f16_e32 v98, v86, v84
	v_add_f16_e32 v99, v83, v84
	v_add_f16_e32 v85, v14, v85
	v_fma_f16 v66, v66, v45, -v10
	v_fma_f16 v100, v29, v46, -v12
	;; [unrolled: 1-line block ×4, first 2 shown]
	v_fmac_f16_e32 v38, v32, v45
	v_fmac_f16_e32 v39, v36, v48
	;; [unrolled: 1-line block ×4, first 2 shown]
	s_waitcnt vmcnt(2)
	v_mul_f16_sdwa v17, v15, v49 dst_sel:DWORD dst_unused:UNUSED_PAD src0_sel:DWORD src1_sel:WORD_1
	v_mul_f16_sdwa v29, v16, v50 dst_sel:DWORD dst_unused:UNUSED_PAD src0_sel:DWORD src1_sel:WORD_1
	;; [unrolled: 1-line block ×8, first 2 shown]
	v_sub_f16_e32 v44, v83, v84
	v_sub_f16_e32 v94, v9, v81
	;; [unrolled: 1-line block ×3, first 2 shown]
	v_add_f16_e32 v42, v42, v43
	v_fma_f16 v9, -0.5, v82, v77
	v_add_f16_e32 v43, v88, v89
	v_fma_f16 v12, -0.5, v90, v77
	v_add_f16_e32 v18, v18, v91
	v_add_f16_e32 v48, v92, v93
	v_fma_f16 v10, -0.5, v95, v14
	v_add_f16_e32 v71, v97, v98
	v_fma_f16 v14, -0.5, v99, v14
	v_add_f16_e32 v36, v83, v85
	v_sub_f16_e32 v77, v66, v100
	v_sub_f16_e32 v85, v38, v39
	;; [unrolled: 1-line block ×5, first 2 shown]
	v_add_f16_e32 v98, v66, v67
	v_sub_f16_e32 v99, v40, v38
	v_add_f16_e32 v102, v38, v39
	s_waitcnt lgkmcnt(3)
	v_add_f16_e32 v66, v66, v78
	v_add_f16_e32 v38, v27, v38
	v_fma_f16 v74, v74, v49, -v17
	v_fma_f16 v62, v62, v50, -v29
	;; [unrolled: 1-line block ×4, first 2 shown]
	v_fmac_f16_e32 v45, v28, v52
	v_fmac_f16_e32 v46, v16, v50
	;; [unrolled: 1-line block ×3, first 2 shown]
	s_waitcnt vmcnt(1)
	v_mul_f16_sdwa v51, v63, v54 dst_sel:DWORD dst_unused:UNUSED_PAD src0_sel:DWORD src1_sel:WORD_1
	v_mul_f16_sdwa v52, v73, v55 dst_sel:DWORD dst_unused:UNUSED_PAD src0_sel:DWORD src1_sel:WORD_1
	;; [unrolled: 1-line block ×4, first 2 shown]
	v_sub_f16_e32 v82, v67, v37
	v_add_f16_e32 v83, v100, v37
	v_sub_f16_e32 v90, v39, v41
	v_add_f16_e32 v91, v40, v41
	v_sub_f16_e32 v97, v37, v67
	v_sub_f16_e32 v101, v41, v39
	v_fmac_f16_e32 v35, v15, v49
	v_mul_f16_sdwa v32, v24, v53 dst_sel:DWORD dst_unused:UNUSED_PAD src0_sel:DWORD src1_sel:WORD_1
	v_mul_f16_sdwa v33, v25, v54 dst_sel:DWORD dst_unused:UNUSED_PAD src0_sel:DWORD src1_sel:WORD_1
	;; [unrolled: 1-line block ×4, first 2 shown]
	v_sub_f16_e32 v88, v40, v41
	v_fmamk_f16 v16, v44, 0x3b9c, v9
	v_fmac_f16_e32 v9, 0xbb9c, v44
	v_fmamk_f16 v15, v87, 0xbb9c, v12
	v_fmac_f16_e32 v12, 0x3b9c, v87
	v_add_f16_e32 v65, v65, v18
	v_fmamk_f16 v18, v96, 0xbb9c, v10
	v_fmac_f16_e32 v10, 0x3b9c, v96
	v_add_f16_e32 v36, v36, v84
	v_fma_f16 v26, -0.5, v98, v78
	v_add_f16_e32 v66, v100, v66
	v_add_f16_e32 v38, v38, v40
	v_sub_f16_e32 v40, v74, v62
	v_sub_f16_e32 v84, v68, v72
	v_add_f16_e32 v98, v46, v47
	v_add_f16_e32 v105, v74, v68
	v_fmac_f16_e32 v51, v25, v54
	v_fmac_f16_e32 v52, v30, v55
	;; [unrolled: 1-line block ×4, first 2 shown]
	v_add_f16_e32 v77, v77, v82
	v_fma_f16 v28, -0.5, v83, v78
	v_add_f16_e32 v82, v89, v90
	v_fma_f16 v29, -0.5, v91, v27
	v_add_f16_e32 v83, v95, v97
	v_add_f16_e32 v78, v99, v101
	v_fma_f16 v27, -0.5, v102, v27
	v_add_f16_e32 v89, v62, v72
	v_sub_f16_e32 v95, v35, v46
	v_sub_f16_e32 v97, v45, v47
	;; [unrolled: 1-line block ×5, first 2 shown]
	s_waitcnt lgkmcnt(2)
	v_add_f16_e32 v74, v74, v79
	v_add_f16_e32 v109, v23, v35
	v_fma_f16 v75, v75, v53, -v32
	v_fma_f16 v63, v63, v54, -v33
	;; [unrolled: 1-line block ×4, first 2 shown]
	s_waitcnt vmcnt(0)
	v_mul_f16_sdwa v53, v20, v57 dst_sel:DWORD dst_unused:UNUSED_PAD src0_sel:DWORD src1_sel:WORD_1
	v_mul_f16_sdwa v54, v21, v58 dst_sel:DWORD dst_unused:UNUSED_PAD src0_sel:DWORD src1_sel:WORD_1
	;; [unrolled: 1-line block ×4, first 2 shown]
	v_sub_f16_e32 v93, v100, v37
	v_fmamk_f16 v17, v94, 0x3b9c, v14
	v_fmac_f16_e32 v14, 0xbb9c, v94
	v_sub_f16_e32 v90, v35, v45
	v_sub_f16_e32 v106, v46, v35
	v_add_f16_e32 v108, v35, v45
	v_mul_f16_sdwa v110, v64, v58 dst_sel:DWORD dst_unused:UNUSED_PAD src0_sel:DWORD src1_sel:WORD_1
	v_fmac_f16_e32 v16, 0xb8b4, v87
	v_fmac_f16_e32 v9, 0x38b4, v87
	;; [unrolled: 1-line block ×6, first 2 shown]
	v_fmamk_f16 v32, v88, 0x3b9c, v26
	v_fmac_f16_e32 v26, 0xbb9c, v88
	v_add_f16_e32 v44, v37, v66
	v_add_f16_e32 v40, v40, v84
	v_fma_f16 v37, -0.5, v98, v23
	v_fma_f16 v35, -0.5, v105, v79
	v_sub_f16_e32 v84, v103, v104
	v_sub_f16_e32 v87, v103, v51
	v_add_f16_e32 v94, v51, v52
	v_add_f16_e32 v98, v11, v103
	v_sub_f16_e32 v105, v51, v103
	v_add_f16_e32 v103, v103, v104
	v_sub_f16_e32 v91, v46, v47
	v_sub_f16_e32 v100, v62, v72
	v_mul_f16_sdwa v69, v76, v57 dst_sel:DWORD dst_unused:UNUSED_PAD src0_sel:DWORD src1_sel:WORD_1
	v_mul_f16_sdwa v73, v70, v60 dst_sel:DWORD dst_unused:UNUSED_PAD src0_sel:DWORD src1_sel:WORD_1
	;; [unrolled: 1-line block ×3, first 2 shown]
	v_add_f16_e32 v24, v81, v65
	v_add_f16_e32 v25, v36, v86
	v_fmamk_f16 v30, v85, 0xbb9c, v28
	v_fmac_f16_e32 v28, 0x3b9c, v85
	v_add_f16_e32 v38, v38, v41
	v_fma_f16 v36, -0.5, v89, v79
	v_add_f16_e32 v41, v95, v97
	v_add_f16_e32 v65, v101, v102
	v_add_f16_e32 v62, v62, v74
	v_add_f16_e32 v46, v109, v46
	v_sub_f16_e32 v74, v75, v63
	v_add_f16_e32 v86, v63, v50
	v_sub_f16_e32 v95, v75, v49
	s_waitcnt lgkmcnt(1)
	v_add_f16_e32 v97, v75, v34
	v_sub_f16_e32 v101, v63, v75
	v_add_f16_e32 v75, v75, v49
	v_fma_f16 v53, v76, v57, -v53
	v_fma_f16 v54, v64, v58, -v54
	;; [unrolled: 1-line block ×4, first 2 shown]
	v_sub_f16_e32 v107, v47, v45
	v_fmac_f16_e32 v17, 0x38b4, v96
	v_fmac_f16_e32 v14, 0xb8b4, v96
	v_sub_f16_e32 v96, v63, v50
	v_fmac_f16_e32 v110, v21, v58
	v_fmac_f16_e32 v32, 0xb8b4, v85
	;; [unrolled: 1-line block ×3, first 2 shown]
	v_fma_f16 v58, -0.5, v94, v11
	v_fmac_f16_e32 v11, -0.5, v103
	v_fmac_f16_e32 v69, v20, v57
	v_fmac_f16_e32 v73, v22, v60
	;; [unrolled: 1-line block ×7, first 2 shown]
	v_fmamk_f16 v21, v90, 0xbb9c, v36
	v_fmamk_f16 v22, v99, 0x3b9c, v37
	v_fmac_f16_e32 v36, 0x3b9c, v90
	v_fmac_f16_e32 v37, 0xbb9c, v99
	v_add_f16_e32 v43, v46, v47
	v_fma_f16 v57, -0.5, v86, v34
	v_fmac_f16_e32 v34, -0.5, v75
	v_sub_f16_e32 v60, v53, v54
	v_sub_f16_e32 v61, v55, v56
	v_add_f16_e32 v75, v53, v55
	v_add_f16_e32 v66, v106, v107
	v_sub_f16_e32 v106, v52, v104
	v_fmac_f16_e32 v16, 0x34f2, v42
	v_fmac_f16_e32 v9, 0x34f2, v42
	;; [unrolled: 1-line block ×4, first 2 shown]
	v_add_f16_e32 v20, v39, v38
	v_fmamk_f16 v38, v91, 0x3b9c, v35
	v_fmac_f16_e32 v35, 0xbb9c, v91
	v_add_f16_e32 v42, v72, v62
	v_add_f16_e32 v47, v63, v97
	;; [unrolled: 1-line block ×3, first 2 shown]
	v_fmac_f16_e32 v32, 0x34f2, v83
	v_fmac_f16_e32 v26, 0x34f2, v83
	v_fmamk_f16 v83, v96, 0xbb9c, v11
	v_fmac_f16_e32 v11, 0x3b9c, v96
	v_add_f16_e32 v19, v67, v44
	v_sub_f16_e32 v64, v110, v111
	v_sub_f16_e32 v67, v69, v110
	;; [unrolled: 1-line block ×3, first 2 shown]
	v_fmac_f16_e32 v30, 0x34f2, v77
	v_fmac_f16_e32 v28, 0x34f2, v77
	;; [unrolled: 1-line block ×6, first 2 shown]
	v_add_f16_e32 v77, v45, v43
	v_add_f16_e32 v45, v60, v61
	s_waitcnt lgkmcnt(0)
	v_fma_f16 v61, -0.5, v75, v80
	v_fmamk_f16 v33, v93, 0xbb9c, v27
	v_fmac_f16_e32 v27, 0x3b9c, v93
	v_fma_f16 v23, -0.5, v108, v23
	v_sub_f16_e32 v79, v49, v50
	v_fmac_f16_e32 v17, 0x34f2, v71
	v_fmac_f16_e32 v14, 0x34f2, v71
	v_add_f16_e32 v59, v105, v106
	v_add_f16_e32 v62, v54, v56
	;; [unrolled: 1-line block ×4, first 2 shown]
	v_fmac_f16_e32 v38, 0xb8b4, v90
	v_fmac_f16_e32 v35, 0x38b4, v90
	v_add_f16_e32 v68, v68, v42
	v_add_f16_e32 v42, v50, v47
	;; [unrolled: 1-line block ×3, first 2 shown]
	v_fmac_f16_e32 v83, 0x38b4, v95
	v_fmac_f16_e32 v11, 0xb8b4, v95
	v_sub_f16_e32 v63, v69, v73
	v_add_f16_e32 v47, v67, v70
	v_fmac_f16_e32 v21, 0x34f2, v40
	v_fmac_f16_e32 v22, 0x34f2, v41
	;; [unrolled: 1-line block ×4, first 2 shown]
	v_sub_f16_e32 v40, v54, v53
	v_sub_f16_e32 v41, v56, v55
	v_fmamk_f16 v70, v64, 0x3b9c, v61
	v_fmac_f16_e32 v61, 0xbb9c, v64
	v_fmac_f16_e32 v33, 0x38b4, v92
	;; [unrolled: 1-line block ×3, first 2 shown]
	v_fmamk_f16 v39, v100, 0xbb9c, v23
	v_fmac_f16_e32 v23, 0x3b9c, v100
	v_sub_f16_e32 v81, v51, v52
	v_sub_f16_e32 v89, v104, v52
	v_add_f16_e32 v44, v74, v79
	v_sub_f16_e32 v72, v53, v55
	v_sub_f16_e32 v74, v54, v56
	v_fma_f16 v52, -0.5, v62, v80
	v_fma_f16 v60, -0.5, v71, v13
	v_fmac_f16_e32 v38, 0x34f2, v65
	v_fmac_f16_e32 v35, 0x34f2, v65
	v_add_f16_e32 v62, v49, v42
	v_add_f16_e32 v65, v104, v43
	v_fmac_f16_e32 v83, 0x34f2, v59
	v_fmac_f16_e32 v11, 0x34f2, v59
	v_fma_f16 v59, -0.5, v76, v13
	v_sub_f16_e32 v42, v110, v69
	v_sub_f16_e32 v43, v111, v73
	v_add_f16_e32 v40, v40, v41
	v_fmac_f16_e32 v70, 0xb8b4, v63
	v_fmac_f16_e32 v61, 0x38b4, v63
	;; [unrolled: 1-line block ×6, first 2 shown]
	v_fmamk_f16 v78, v84, 0x3b9c, v57
	v_fmac_f16_e32 v57, 0xbb9c, v84
	v_fmamk_f16 v79, v95, 0xbb9c, v58
	v_fmac_f16_e32 v58, 0x3b9c, v95
	v_fmamk_f16 v67, v72, 0x3b9c, v60
	v_fmamk_f16 v71, v74, 0xbb9c, v59
	v_add_f16_e32 v42, v42, v43
	v_fmac_f16_e32 v59, 0x3b9c, v74
	v_add_f16_e32 v43, v53, v80
	v_fmac_f16_e32 v60, 0xbb9c, v72
	v_fmac_f16_e32 v70, 0x34f2, v40
	;; [unrolled: 1-line block ×3, first 2 shown]
	v_mad_u64_u32 v[40:41], null, s2, v4, 0
	v_fmac_f16_e32 v39, 0x34f2, v66
	v_fmac_f16_e32 v23, 0x34f2, v66
	;; [unrolled: 1-line block ×4, first 2 shown]
	v_fmamk_f16 v66, v63, 0xbb9c, v52
	v_fmac_f16_e32 v52, 0x3b9c, v63
	v_add_f16_e32 v13, v13, v69
	v_add_f16_e32 v46, v87, v89
	v_fmac_f16_e32 v79, 0xb8b4, v96
	v_fmac_f16_e32 v58, 0x38b4, v96
	;; [unrolled: 1-line block ×5, first 2 shown]
	v_add_f16_e32 v43, v54, v43
	v_fmac_f16_e32 v60, 0xb8b4, v74
	v_fmac_f16_e32 v78, 0x34f2, v44
	;; [unrolled: 1-line block ×5, first 2 shown]
	v_add_f16_e32 v44, v13, v110
	v_mov_b32_e32 v13, v41
	v_fmac_f16_e32 v79, 0x34f2, v46
	v_fmac_f16_e32 v58, 0x34f2, v46
	;; [unrolled: 1-line block ×5, first 2 shown]
	v_add_f16_e32 v46, v56, v43
	v_mad_u64_u32 v[42:43], null, s2, v3, 0
	v_fmac_f16_e32 v60, 0x34f2, v47
	v_add_nc_u32_e32 v47, 0x186, v4
	v_fmac_f16_e32 v66, 0x34f2, v45
	v_fmac_f16_e32 v52, 0x34f2, v45
	v_add_f16_e32 v41, v44, v111
	v_mad_u64_u32 v[44:45], null, s3, v4, v[13:14]
	v_sub_f16_e32 v102, v50, v49
	v_add_f16_e32 v49, v55, v46
	v_mad_u64_u32 v[45:46], null, s2, v47, 0
	v_mov_b32_e32 v13, v43
	v_fmamk_f16 v31, v92, 0x3b9c, v29
	v_fmac_f16_e32 v29, 0xbb9c, v92
	v_add_f16_e32 v50, v73, v41
	v_mov_b32_e32 v41, v44
	v_mad_u64_u32 v[43:44], null, s3, v3, v[13:14]
	v_add_co_u32 v13, vcc_lo, s12, v0
	v_mov_b32_e32 v0, v46
	v_add_nc_u32_e32 v3, 0x249, v4
	v_fmac_f16_e32 v31, 0x38b4, v93
	v_fmac_f16_e32 v29, 0xb8b4, v93
	v_add_co_ci_u32_e32 v55, vcc_lo, s13, v1, vcc_lo
	v_mad_u64_u32 v[0:1], null, s3, v47, v[0:1]
	v_mad_u64_u32 v[47:48], null, s2, v3, 0
	v_add_nc_u32_e32 v53, 0x30c, v4
	v_fmac_f16_e32 v31, 0x34f2, v82
	v_fmac_f16_e32 v29, 0x34f2, v82
	v_fmamk_f16 v82, v81, 0x3b9c, v34
	v_fmac_f16_e32 v34, 0xbb9c, v81
	v_pack_b32_f16 v56, v50, v49
	v_mad_u64_u32 v[49:50], null, s2, v53, 0
	v_lshlrev_b64 v[40:41], 2, v[40:41]
	v_mov_b32_e32 v46, v0
	v_mov_b32_e32 v0, v48
	v_add_f16_e32 v51, v101, v102
	v_fmac_f16_e32 v82, 0xb8b4, v84
	v_fmac_f16_e32 v34, 0x38b4, v84
	v_lshlrev_b64 v[42:43], 2, v[42:43]
	v_add_co_u32 v40, vcc_lo, v13, v40
	v_lshlrev_b64 v[44:45], 2, v[45:46]
	v_mad_u64_u32 v[0:1], null, s3, v3, v[0:1]
	v_fmac_f16_e32 v82, 0x34f2, v51
	v_fmac_f16_e32 v34, 0x34f2, v51
	v_pack_b32_f16 v60, v60, v52
	v_mov_b32_e32 v1, v50
	v_mad_u64_u32 v[51:52], null, s2, v5, 0
	v_add_co_ci_u32_e32 v41, vcc_lo, v55, v41, vcc_lo
	v_add_co_u32 v42, vcc_lo, v13, v42
	v_add_co_ci_u32_e32 v43, vcc_lo, v55, v43, vcc_lo
	v_add_co_u32 v44, vcc_lo, v13, v44
	v_mad_u64_u32 v[53:54], null, s3, v53, v[1:2]
	v_add_co_ci_u32_e32 v45, vcc_lo, v55, v45, vcc_lo
	v_pack_b32_f16 v1, v59, v61
	v_mov_b32_e32 v48, v0
	v_mov_b32_e32 v0, v52
	global_store_dword v[40:41], v56, off
	global_store_dword v[42:43], v60, off
	v_mov_b32_e32 v50, v53
	global_store_dword v[44:45], v1, off
	v_mad_u64_u32 v[44:45], null, s2, v2, 0
	v_mad_u64_u32 v[0:1], null, s3, v5, v[0:1]
	v_lshlrev_b64 v[40:41], 2, v[47:48]
	v_add_nc_u32_e32 v48, 0x1ad, v4
	v_lshlrev_b64 v[42:43], 2, v[49:50]
	v_pack_b32_f16 v5, v71, v70
	v_mov_b32_e32 v3, v45
	v_pack_b32_f16 v50, v67, v66
	v_mad_u64_u32 v[46:47], null, s2, v48, 0
	v_add_co_u32 v40, vcc_lo, v13, v40
	v_mov_b32_e32 v52, v0
	v_add_co_ci_u32_e32 v41, vcc_lo, v55, v41, vcc_lo
	v_add_co_u32 v0, vcc_lo, v13, v42
	v_mad_u64_u32 v[2:3], null, s3, v2, v[3:4]
	v_add_co_ci_u32_e32 v1, vcc_lo, v55, v43, vcc_lo
	v_lshlrev_b64 v[42:43], 2, v[51:52]
	v_mul_hi_u32 v51, 0x50150151, v8
	v_mov_b32_e32 v3, v47
	v_add_nc_u32_e32 v52, 0x270, v4
	v_mov_b32_e32 v45, v2
	v_pack_b32_f16 v47, v65, v62
	v_add_co_u32 v42, vcc_lo, v13, v42
	v_mad_u64_u32 v[2:3], null, s3, v48, v[3:4]
	v_sub_nc_u32_e32 v3, v8, v51
	v_add_co_ci_u32_e32 v43, vcc_lo, v55, v43, vcc_lo
	v_mad_u64_u32 v[48:49], null, s2, v52, 0
	global_store_dword v[40:41], v5, off
	global_store_dword v[0:1], v50, off
	;; [unrolled: 1-line block ×3, first 2 shown]
	v_lshrrev_b32_e32 v3, 1, v3
	v_add_nc_u32_e32 v42, 0x333, v4
	v_mov_b32_e32 v47, v2
	v_lshlrev_b64 v[0:1], 2, v[44:45]
	v_pack_b32_f16 v38, v39, v38
	v_add_nc_u32_e32 v5, v3, v51
	v_mad_u64_u32 v[3:4], null, s2, v42, 0
	v_mov_b32_e32 v2, v49
	v_add_co_u32 v0, vcc_lo, v13, v0
	v_add_co_ci_u32_e32 v1, vcc_lo, v55, v1, vcc_lo
	v_pack_b32_f16 v39, v22, v21
	v_mad_u64_u32 v[40:41], null, s3, v52, v[2:3]
	v_lshrrev_b32_e32 v41, 7, v5
	v_mov_b32_e32 v2, v4
	v_lshlrev_b64 v[4:5], 2, v[46:47]
	v_pack_b32_f16 v52, v79, v78
	v_pack_b32_f16 v10, v10, v9
	v_mad_u32_u24 v8, 0x30c, v41, v8
	v_mov_b32_e32 v49, v40
	v_mad_u64_u32 v[40:41], null, s3, v42, v[2:3]
	v_add_co_u32 v43, vcc_lo, v13, v4
	v_mad_u64_u32 v[41:42], null, s2, v8, 0
	v_add_co_ci_u32_e32 v44, vcc_lo, v55, v5, vcc_lo
	v_pack_b32_f16 v5, v11, v34
	v_add_nc_u32_e32 v11, 0xc3, v8
	v_mov_b32_e32 v4, v40
	v_lshlrev_b64 v[45:46], 2, v[48:49]
	v_mov_b32_e32 v2, v42
	v_pack_b32_f16 v34, v83, v82
	v_mad_u64_u32 v[47:48], null, s2, v11, 0
	v_lshlrev_b64 v[3:4], 2, v[3:4]
	v_add_co_u32 v45, vcc_lo, v13, v45
	v_add_co_ci_u32_e32 v46, vcc_lo, v55, v46, vcc_lo
	v_pack_b32_f16 v40, v58, v57
	v_mad_u64_u32 v[49:50], null, s3, v8, v[2:3]
	v_mov_b32_e32 v2, v48
	v_add_co_u32 v3, vcc_lo, v13, v3
	v_add_co_ci_u32_e32 v4, vcc_lo, v55, v4, vcc_lo
	global_store_dword v[0:1], v52, off
	v_mad_u64_u32 v[50:51], null, s3, v11, v[2:3]
	v_mov_b32_e32 v42, v49
	global_store_dword v[43:44], v5, off
	global_store_dword v[45:46], v34, off
	;; [unrolled: 1-line block ×3, first 2 shown]
	v_mul_hi_u32 v34, 0x50150151, v7
	v_add_nc_u32_e32 v11, 0x186, v8
	v_add_nc_u32_e32 v45, 0x249, v8
	v_lshlrev_b64 v[0:1], 2, v[41:42]
	v_mov_b32_e32 v48, v50
	v_pack_b32_f16 v44, v77, v68
	v_mad_u64_u32 v[2:3], null, s2, v11, 0
	v_sub_nc_u32_e32 v42, v7, v34
	v_lshlrev_b64 v[4:5], 2, v[47:48]
	v_add_co_u32 v0, vcc_lo, v13, v0
	v_add_co_ci_u32_e32 v1, vcc_lo, v55, v1, vcc_lo
	v_lshrrev_b32_e32 v46, 1, v42
	v_add_co_u32 v4, vcc_lo, v13, v4
	v_mad_u64_u32 v[40:41], null, s2, v45, 0
	v_add_co_ci_u32_e32 v5, vcc_lo, v55, v5, vcc_lo
	v_mad_u64_u32 v[42:43], null, s3, v11, v[3:4]
	v_add_nc_u32_e32 v3, v46, v34
	v_add_nc_u32_e32 v11, 0x30c, v8
	v_mov_b32_e32 v8, v41
	v_pack_b32_f16 v34, v37, v36
	global_store_dword v[0:1], v44, off
	v_lshrrev_b32_e32 v43, 7, v3
	v_mov_b32_e32 v3, v42
	v_mad_u64_u32 v[41:42], null, s3, v45, v[8:9]
	v_mad_u64_u32 v[36:37], null, s2, v11, 0
	v_mad_u32_u24 v42, 0x30c, v43, v7
	global_store_dword v[4:5], v34, off
	v_lshlrev_b64 v[0:1], 2, v[2:3]
	v_pack_b32_f16 v12, v14, v12
	v_pack_b32_f16 v14, v18, v16
	v_mad_u64_u32 v[3:4], null, s2, v42, 0
	v_mov_b32_e32 v2, v37
	v_add_co_u32 v0, vcc_lo, v13, v0
	v_add_co_ci_u32_e32 v1, vcc_lo, v55, v1, vcc_lo
	v_mad_u64_u32 v[7:8], null, s3, v11, v[2:3]
	v_mov_b32_e32 v2, v4
	v_lshlrev_b64 v[4:5], 2, v[40:41]
	v_pack_b32_f16 v11, v23, v35
	v_add_nc_u32_e32 v23, 0x186, v42
	v_add_nc_u32_e32 v40, 0x249, v42
	v_pack_b32_f16 v41, v20, v19
	v_mov_b32_e32 v37, v7
	v_mad_u64_u32 v[7:8], null, s3, v42, v[2:3]
	v_add_co_u32 v34, vcc_lo, v13, v4
	v_add_co_ci_u32_e32 v35, vcc_lo, v55, v5, vcc_lo
	v_add_nc_u32_e32 v5, 0xc3, v42
	v_lshlrev_b64 v[36:37], 2, v[36:37]
	v_mov_b32_e32 v4, v7
	v_mad_u64_u32 v[21:22], null, s2, v23, 0
	v_mad_u64_u32 v[7:8], null, s2, v5, 0
	v_lshlrev_b64 v[2:3], 2, v[3:4]
	v_add_co_u32 v36, vcc_lo, v13, v36
	v_mad_u64_u32 v[19:20], null, s2, v40, 0
	v_add_co_ci_u32_e32 v37, vcc_lo, v55, v37, vcc_lo
	v_mov_b32_e32 v4, v8
	v_add_co_u32 v2, vcc_lo, v13, v2
	v_add_co_ci_u32_e32 v3, vcc_lo, v55, v3, vcc_lo
	v_mad_u64_u32 v[4:5], null, s3, v5, v[4:5]
	v_mov_b32_e32 v5, v22
	global_store_dword v[0:1], v11, off
	global_store_dword v[34:35], v38, off
	;; [unrolled: 1-line block ×4, first 2 shown]
	v_mul_hi_u32 v11, 0x50150151, v6
	v_mov_b32_e32 v0, v20
	v_mad_u64_u32 v[22:23], null, s3, v23, v[5:6]
	v_mov_b32_e32 v8, v4
	v_add_nc_u32_e32 v23, 0x30c, v42
	v_lshlrev_b64 v[1:2], 2, v[7:8]
	v_mad_u64_u32 v[7:8], null, s2, v23, 0
	v_mad_u64_u32 v[3:4], null, s3, v40, v[0:1]
	v_add_co_u32 v0, vcc_lo, v13, v1
	v_add_co_ci_u32_e32 v1, vcc_lo, v55, v2, vcc_lo
	v_sub_nc_u32_e32 v2, v6, v11
	v_lshlrev_b64 v[4:5], 2, v[21:22]
	v_mov_b32_e32 v20, v3
	v_pack_b32_f16 v21, v29, v28
	v_lshrrev_b32_e32 v22, 1, v2
	v_add_co_u32 v2, vcc_lo, v13, v4
	v_mov_b32_e32 v4, v8
	v_add_nc_u32_e32 v8, v22, v11
	v_add_co_ci_u32_e32 v3, vcc_lo, v55, v5, vcc_lo
	v_lshlrev_b64 v[19:20], 2, v[19:20]
	v_mad_u64_u32 v[4:5], null, s3, v23, v[4:5]
	v_lshrrev_b32_e32 v5, 7, v8
	v_pack_b32_f16 v11, v27, v26
	v_pack_b32_f16 v22, v33, v32
	v_add_co_u32 v19, vcc_lo, v13, v19
	v_mad_u32_u24 v23, 0x30c, v5, v6
	v_mov_b32_e32 v8, v4
	v_add_co_ci_u32_e32 v20, vcc_lo, v55, v20, vcc_lo
	global_store_dword v[0:1], v21, off
	global_store_dword v[2:3], v11, off
	;; [unrolled: 1-line block ×3, first 2 shown]
	v_add_nc_u32_e32 v11, 0xc3, v23
	v_lshlrev_b64 v[0:1], 2, v[7:8]
	v_add_nc_u32_e32 v8, 0x186, v23
	v_mad_u64_u32 v[2:3], null, s2, v23, 0
	v_mad_u64_u32 v[4:5], null, s2, v11, 0
	v_mad_u64_u32 v[6:7], null, s2, v8, 0
	v_add_nc_u32_e32 v27, 0x249, v23
	v_add_co_u32 v0, vcc_lo, v13, v0
	v_add_co_ci_u32_e32 v1, vcc_lo, v55, v1, vcc_lo
	v_mad_u64_u32 v[19:20], null, s3, v23, v[3:4]
	v_mad_u64_u32 v[20:21], null, s3, v11, v[5:6]
	v_mov_b32_e32 v5, v7
	v_mad_u64_u32 v[21:22], null, s2, v27, 0
	v_pack_b32_f16 v26, v31, v30
	v_mov_b32_e32 v3, v19
	v_mad_u64_u32 v[7:8], null, s3, v8, v[5:6]
	v_add_nc_u32_e32 v8, 0x30c, v23
	v_mov_b32_e32 v5, v20
	global_store_dword v[0:1], v26, off
	v_lshlrev_b64 v[0:1], 2, v[2:3]
	v_mov_b32_e32 v2, v22
	v_mad_u64_u32 v[19:20], null, s2, v8, 0
	v_lshlrev_b64 v[4:5], 2, v[4:5]
	v_pack_b32_f16 v11, v25, v24
	v_mad_u64_u32 v[2:3], null, s3, v27, v[2:3]
	v_add_co_u32 v0, vcc_lo, v13, v0
	v_mov_b32_e32 v3, v20
	v_add_co_ci_u32_e32 v1, vcc_lo, v55, v1, vcc_lo
	v_lshlrev_b64 v[6:7], 2, v[6:7]
	v_mov_b32_e32 v22, v2
	v_mad_u64_u32 v[23:24], null, s3, v8, v[3:4]
	v_add_co_u32 v2, vcc_lo, v13, v4
	v_add_co_ci_u32_e32 v3, vcc_lo, v55, v5, vcc_lo
	v_lshlrev_b64 v[4:5], 2, v[21:22]
	v_add_co_u32 v6, vcc_lo, v13, v6
	v_mov_b32_e32 v20, v23
	v_add_co_ci_u32_e32 v7, vcc_lo, v55, v7, vcc_lo
	v_add_co_u32 v4, vcc_lo, v13, v4
	v_lshlrev_b64 v[8:9], 2, v[19:20]
	v_add_co_ci_u32_e32 v5, vcc_lo, v55, v5, vcc_lo
	v_add_co_u32 v8, vcc_lo, v13, v8
	v_add_co_ci_u32_e32 v9, vcc_lo, v55, v9, vcc_lo
	v_pack_b32_f16 v13, v17, v15
	global_store_dword v[0:1], v11, off
	global_store_dword v[2:3], v12, off
	;; [unrolled: 1-line block ×5, first 2 shown]
.LBB0_26:
	s_endpgm
	.section	.rodata,"a",@progbits
	.p2align	6, 0x0
	.amdhsa_kernel fft_rtc_back_len975_factors_13_5_3_5_wgs_117_tpt_39_halfLds_half_ip_CI_sbrr_dirReg
		.amdhsa_group_segment_fixed_size 0
		.amdhsa_private_segment_fixed_size 0
		.amdhsa_kernarg_size 88
		.amdhsa_user_sgpr_count 6
		.amdhsa_user_sgpr_private_segment_buffer 1
		.amdhsa_user_sgpr_dispatch_ptr 0
		.amdhsa_user_sgpr_queue_ptr 0
		.amdhsa_user_sgpr_kernarg_segment_ptr 1
		.amdhsa_user_sgpr_dispatch_id 0
		.amdhsa_user_sgpr_flat_scratch_init 0
		.amdhsa_user_sgpr_private_segment_size 0
		.amdhsa_wavefront_size32 1
		.amdhsa_uses_dynamic_stack 0
		.amdhsa_system_sgpr_private_segment_wavefront_offset 0
		.amdhsa_system_sgpr_workgroup_id_x 1
		.amdhsa_system_sgpr_workgroup_id_y 0
		.amdhsa_system_sgpr_workgroup_id_z 0
		.amdhsa_system_sgpr_workgroup_info 0
		.amdhsa_system_vgpr_workitem_id 0
		.amdhsa_next_free_vgpr 112
		.amdhsa_next_free_sgpr 23
		.amdhsa_reserve_vcc 1
		.amdhsa_reserve_flat_scratch 0
		.amdhsa_float_round_mode_32 0
		.amdhsa_float_round_mode_16_64 0
		.amdhsa_float_denorm_mode_32 3
		.amdhsa_float_denorm_mode_16_64 3
		.amdhsa_dx10_clamp 1
		.amdhsa_ieee_mode 1
		.amdhsa_fp16_overflow 0
		.amdhsa_workgroup_processor_mode 1
		.amdhsa_memory_ordered 1
		.amdhsa_forward_progress 0
		.amdhsa_shared_vgpr_count 0
		.amdhsa_exception_fp_ieee_invalid_op 0
		.amdhsa_exception_fp_denorm_src 0
		.amdhsa_exception_fp_ieee_div_zero 0
		.amdhsa_exception_fp_ieee_overflow 0
		.amdhsa_exception_fp_ieee_underflow 0
		.amdhsa_exception_fp_ieee_inexact 0
		.amdhsa_exception_int_div_zero 0
	.end_amdhsa_kernel
	.text
.Lfunc_end0:
	.size	fft_rtc_back_len975_factors_13_5_3_5_wgs_117_tpt_39_halfLds_half_ip_CI_sbrr_dirReg, .Lfunc_end0-fft_rtc_back_len975_factors_13_5_3_5_wgs_117_tpt_39_halfLds_half_ip_CI_sbrr_dirReg
                                        ; -- End function
	.section	.AMDGPU.csdata,"",@progbits
; Kernel info:
; codeLenInByte = 19064
; NumSgprs: 25
; NumVgprs: 112
; ScratchSize: 0
; MemoryBound: 0
; FloatMode: 240
; IeeeMode: 1
; LDSByteSize: 0 bytes/workgroup (compile time only)
; SGPRBlocks: 3
; VGPRBlocks: 13
; NumSGPRsForWavesPerEU: 25
; NumVGPRsForWavesPerEU: 112
; Occupancy: 9
; WaveLimiterHint : 1
; COMPUTE_PGM_RSRC2:SCRATCH_EN: 0
; COMPUTE_PGM_RSRC2:USER_SGPR: 6
; COMPUTE_PGM_RSRC2:TRAP_HANDLER: 0
; COMPUTE_PGM_RSRC2:TGID_X_EN: 1
; COMPUTE_PGM_RSRC2:TGID_Y_EN: 0
; COMPUTE_PGM_RSRC2:TGID_Z_EN: 0
; COMPUTE_PGM_RSRC2:TIDIG_COMP_CNT: 0
	.text
	.p2alignl 6, 3214868480
	.fill 48, 4, 3214868480
	.type	__hip_cuid_ea9286adbf2334d4,@object ; @__hip_cuid_ea9286adbf2334d4
	.section	.bss,"aw",@nobits
	.globl	__hip_cuid_ea9286adbf2334d4
__hip_cuid_ea9286adbf2334d4:
	.byte	0                               ; 0x0
	.size	__hip_cuid_ea9286adbf2334d4, 1

	.ident	"AMD clang version 19.0.0git (https://github.com/RadeonOpenCompute/llvm-project roc-6.4.0 25133 c7fe45cf4b819c5991fe208aaa96edf142730f1d)"
	.section	".note.GNU-stack","",@progbits
	.addrsig
	.addrsig_sym __hip_cuid_ea9286adbf2334d4
	.amdgpu_metadata
---
amdhsa.kernels:
  - .args:
      - .actual_access:  read_only
        .address_space:  global
        .offset:         0
        .size:           8
        .value_kind:     global_buffer
      - .offset:         8
        .size:           8
        .value_kind:     by_value
      - .actual_access:  read_only
        .address_space:  global
        .offset:         16
        .size:           8
        .value_kind:     global_buffer
      - .actual_access:  read_only
        .address_space:  global
        .offset:         24
        .size:           8
        .value_kind:     global_buffer
      - .offset:         32
        .size:           8
        .value_kind:     by_value
      - .actual_access:  read_only
        .address_space:  global
        .offset:         40
        .size:           8
        .value_kind:     global_buffer
      - .actual_access:  read_only
        .address_space:  global
        .offset:         48
        .size:           8
        .value_kind:     global_buffer
      - .offset:         56
        .size:           4
        .value_kind:     by_value
      - .actual_access:  read_only
        .address_space:  global
        .offset:         64
        .size:           8
        .value_kind:     global_buffer
      - .actual_access:  read_only
        .address_space:  global
        .offset:         72
        .size:           8
        .value_kind:     global_buffer
      - .address_space:  global
        .offset:         80
        .size:           8
        .value_kind:     global_buffer
    .group_segment_fixed_size: 0
    .kernarg_segment_align: 8
    .kernarg_segment_size: 88
    .language:       OpenCL C
    .language_version:
      - 2
      - 0
    .max_flat_workgroup_size: 117
    .name:           fft_rtc_back_len975_factors_13_5_3_5_wgs_117_tpt_39_halfLds_half_ip_CI_sbrr_dirReg
    .private_segment_fixed_size: 0
    .sgpr_count:     25
    .sgpr_spill_count: 0
    .symbol:         fft_rtc_back_len975_factors_13_5_3_5_wgs_117_tpt_39_halfLds_half_ip_CI_sbrr_dirReg.kd
    .uniform_work_group_size: 1
    .uses_dynamic_stack: false
    .vgpr_count:     112
    .vgpr_spill_count: 0
    .wavefront_size: 32
    .workgroup_processor_mode: 1
amdhsa.target:   amdgcn-amd-amdhsa--gfx1030
amdhsa.version:
  - 1
  - 2
...

	.end_amdgpu_metadata
